;; amdgpu-corpus repo=ROCm/rocFFT kind=compiled arch=gfx1201 opt=O3
	.text
	.amdgcn_target "amdgcn-amd-amdhsa--gfx1201"
	.amdhsa_code_object_version 6
	.protected	bluestein_single_back_len900_dim1_half_op_CI_CI ; -- Begin function bluestein_single_back_len900_dim1_half_op_CI_CI
	.globl	bluestein_single_back_len900_dim1_half_op_CI_CI
	.p2align	8
	.type	bluestein_single_back_len900_dim1_half_op_CI_CI,@function
bluestein_single_back_len900_dim1_half_op_CI_CI: ; @bluestein_single_back_len900_dim1_half_op_CI_CI
; %bb.0:
	s_load_b128 s[12:15], s[0:1], 0x28
	v_mul_u32_u24_e32 v1, 0x2d9, v0
	v_mov_b32_e32 v9, 0
	s_mov_b32 s2, exec_lo
	s_delay_alu instid0(VALU_DEP_2) | instskip(NEXT) | instid1(VALU_DEP_1)
	v_lshrrev_b32_e32 v1, 16, v1
	v_lshl_add_u32 v8, ttmp9, 1, v1
	s_wait_kmcnt 0x0
	s_delay_alu instid0(VALU_DEP_1)
	v_cmpx_gt_u64_e64 s[12:13], v[8:9]
	s_cbranch_execz .LBB0_18
; %bb.1:
	s_clause 0x1
	s_load_b128 s[8:11], s[0:1], 0x18
	s_load_b128 s[4:7], s[0:1], 0x0
	v_mul_lo_u16 v2, 0x5a, v1
	s_load_b64 s[12:13], s[0:1], 0x38
	s_mov_b32 s0, 0
	s_delay_alu instid0(VALU_DEP_1)
	v_sub_nc_u16 v11, v0, v2
	s_wait_kmcnt 0x0
	s_load_b128 s[16:19], s[8:9], 0x0
	s_wait_kmcnt 0x0
	v_mad_co_u64_u32 v[2:3], null, s18, v8, 0
	v_and_b32_e32 v9, 0xffff, v11
	s_mul_u64 s[2:3], s[16:17], 0x168
	s_delay_alu instid0(VALU_DEP_2) | instskip(NEXT) | instid1(VALU_DEP_2)
	v_mov_b32_e32 v0, v3
	v_mad_co_u64_u32 v[4:5], null, s16, v9, 0
	v_lshlrev_b32_e32 v59, 2, v9
	s_clause 0x7
	global_load_b32 v51, v59, s[4:5]
	global_load_b32 v52, v59, s[4:5] offset:360
	global_load_b32 v49, v59, s[4:5] offset:720
	;; [unrolled: 1-line block ×7, first 2 shown]
	v_mov_b32_e32 v3, v5
	v_mad_co_u64_u32 v[5:6], null, s19, v8, v[0:1]
	s_clause 0x1
	global_load_b32 v37, v59, s[4:5] offset:2880
	global_load_b32 v36, v59, s[4:5] offset:3240
	v_and_b32_e32 v1, 1, v1
	v_mad_co_u64_u32 v[6:7], null, s17, v9, v[3:4]
	v_mov_b32_e32 v3, v5
	s_delay_alu instid0(VALU_DEP_2) | instskip(NEXT) | instid1(VALU_DEP_2)
	v_mov_b32_e32 v5, v6
	v_lshlrev_b64_e32 v[2:3], 2, v[2:3]
	s_delay_alu instid0(VALU_DEP_2) | instskip(NEXT) | instid1(VALU_DEP_2)
	v_lshlrev_b64_e32 v[4:5], 2, v[4:5]
	v_add_co_u32 v0, vcc_lo, s14, v2
	s_delay_alu instid0(VALU_DEP_3) | instskip(NEXT) | instid1(VALU_DEP_2)
	v_add_co_ci_u32_e32 v3, vcc_lo, s15, v3, vcc_lo
	v_add_co_u32 v2, vcc_lo, v0, v4
	s_wait_alu 0xfffd
	s_delay_alu instid0(VALU_DEP_2) | instskip(NEXT) | instid1(VALU_DEP_2)
	v_add_co_ci_u32_e32 v3, vcc_lo, v3, v5, vcc_lo
	v_add_co_u32 v4, vcc_lo, v2, s2
	s_wait_alu 0xfffd
	s_delay_alu instid0(VALU_DEP_2)
	v_add_co_ci_u32_e32 v5, vcc_lo, s3, v3, vcc_lo
	s_clause 0x1
	global_load_b32 v0, v[2:3], off
	global_load_b32 v6, v[4:5], off
	v_add_co_u32 v2, vcc_lo, v4, s2
	s_wait_alu 0xfffd
	v_add_co_ci_u32_e32 v3, vcc_lo, s3, v5, vcc_lo
	s_delay_alu instid0(VALU_DEP_2) | instskip(SKIP_1) | instid1(VALU_DEP_2)
	v_add_co_u32 v4, vcc_lo, v2, s2
	s_wait_alu 0xfffd
	v_add_co_ci_u32_e32 v5, vcc_lo, s3, v3, vcc_lo
	s_clause 0x1
	global_load_b32 v7, v[2:3], off
	global_load_b32 v16, v[4:5], off
	v_add_co_u32 v2, vcc_lo, v4, s2
	s_wait_alu 0xfffd
	v_add_co_ci_u32_e32 v3, vcc_lo, s3, v5, vcc_lo
	s_delay_alu instid0(VALU_DEP_2) | instskip(SKIP_1) | instid1(VALU_DEP_2)
	v_add_co_u32 v4, vcc_lo, v2, s2
	s_wait_alu 0xfffd
	v_add_co_ci_u32_e32 v5, vcc_lo, s3, v3, vcc_lo
	global_load_b32 v17, v[2:3], off
	v_add_co_u32 v2, vcc_lo, v4, s2
	s_wait_alu 0xfffd
	v_add_co_ci_u32_e32 v3, vcc_lo, s3, v5, vcc_lo
	global_load_b32 v18, v[4:5], off
	;; [unrolled: 4-line block ×5, first 2 shown]
	global_load_b32 v3, v[4:5], off
	v_cmp_eq_u32_e32 vcc_lo, 1, v1
	v_and_b32_e32 v4, 0xff, v11
	s_load_b128 s[8:11], s[10:11], 0x0
	v_cndmask_b32_e64 v1, 0, 0x384, vcc_lo
	v_cmp_gt_u16_e32 vcc_lo, 30, v11
	s_delay_alu instid0(VALU_DEP_2) | instskip(SKIP_1) | instid1(VALU_DEP_2)
	v_lshlrev_b32_e32 v57, 2, v1
	v_mul_lo_u16 v1, 0xcd, v4
	v_add_nc_u32_e32 v42, v57, v59
	s_delay_alu instid0(VALU_DEP_2) | instskip(NEXT) | instid1(VALU_DEP_2)
	v_lshrrev_b16 v15, 11, v1
	v_add_nc_u32_e32 v12, 0x200, v42
	v_add_nc_u32_e32 v10, 0x400, v42
	;; [unrolled: 1-line block ×4, first 2 shown]
	v_mul_lo_u16 v21, v15, 10
	s_wait_loadcnt 0x13
	v_lshrrev_b32_e32 v56, 16, v51
	s_wait_loadcnt 0x12
	v_lshrrev_b32_e32 v55, 16, v52
	;; [unrolled: 2-line block ×11, first 2 shown]
	v_mul_f16_e32 v4, v56, v0
	s_wait_loadcnt 0x8
	v_lshrrev_b32_e32 v22, 16, v6
	v_mul_f16_e32 v23, v55, v6
	v_mul_f16_e32 v5, v56, v1
	v_fma_f16 v1, v51, v1, -v4
	s_delay_alu instid0(VALU_DEP_2)
	v_fmac_f16_e32 v5, v51, v0
	v_mul_f16_e32 v0, v55, v22
	v_fma_f16 v22, v52, v22, -v23
	s_wait_loadcnt 0x7
	v_lshrrev_b32_e32 v4, 16, v7
	v_mul_f16_e32 v23, v54, v7
	v_pack_b32_f16 v1, v5, v1
	v_fmac_f16_e32 v0, v52, v6
	s_wait_loadcnt 0x6
	v_lshrrev_b32_e32 v6, 16, v16
	v_mul_f16_e32 v5, v54, v4
	v_fma_f16 v4, v49, v4, -v23
	v_mul_f16_e32 v23, v53, v16
	v_pack_b32_f16 v0, v0, v22
	s_delay_alu instid0(VALU_DEP_4)
	v_fmac_f16_e32 v5, v49, v7
	v_mul_f16_e32 v7, v53, v6
	s_wait_loadcnt 0x5
	v_lshrrev_b32_e32 v22, 16, v17
	v_mul_f16_e32 v24, v50, v17
	v_fma_f16 v6, v47, v6, -v23
	v_pack_b32_f16 v4, v5, v4
	v_fmac_f16_e32 v7, v47, v16
	v_mul_f16_e32 v5, v50, v22
	v_fma_f16 v16, v45, v22, -v24
	s_wait_loadcnt 0x4
	v_lshrrev_b32_e32 v22, 16, v18
	v_mul_f16_e32 v23, v48, v18
	v_pack_b32_f16 v6, v7, v6
	v_fmac_f16_e32 v5, v45, v17
	s_wait_loadcnt 0x3
	v_lshrrev_b32_e32 v7, 16, v19
	v_mul_f16_e32 v17, v48, v22
	v_fma_f16 v22, v43, v22, -v23
	v_mul_f16_e32 v23, v46, v19
	v_pack_b32_f16 v5, v5, v16
	v_mul_f16_e32 v16, v46, v7
	v_fmac_f16_e32 v17, v43, v18
	s_wait_loadcnt 0x2
	v_lshrrev_b32_e32 v18, 16, v20
	v_fma_f16 v7, v40, v7, -v23
	v_mul_f16_e32 v23, v44, v20
	v_fmac_f16_e32 v16, v40, v19
	s_wait_loadcnt 0x1
	v_lshrrev_b32_e32 v19, 16, v2
	s_wait_loadcnt 0x0
	v_lshrrev_b32_e32 v25, 16, v3
	v_mul_f16_e32 v24, v44, v18
	v_fma_f16 v18, v38, v18, -v23
	v_mul_f16_e32 v23, v41, v2
	v_mul_f16_e32 v26, v41, v19
	;; [unrolled: 1-line block ×4, first 2 shown]
	v_fmac_f16_e32 v24, v38, v20
	v_fma_f16 v19, v37, v19, -v23
	v_fmac_f16_e32 v26, v37, v2
	v_fma_f16 v2, v36, v25, -v27
	v_fmac_f16_e32 v28, v36, v3
	v_pack_b32_f16 v3, v17, v22
	v_pack_b32_f16 v7, v16, v7
	;; [unrolled: 1-line block ×5, first 2 shown]
	ds_store_2addr_b32 v42, v1, v0 offset1:90
	ds_store_2addr_b32 v12, v4, v6 offset0:52 offset1:142
	ds_store_2addr_b32 v10, v5, v3 offset0:104 offset1:194
	;; [unrolled: 1-line block ×4, first 2 shown]
	v_mul_lo_u16 v16, v11, 10
	global_wb scope:SCOPE_SE
	s_wait_dscnt 0x0
	s_wait_kmcnt 0x0
	s_barrier_signal -1
	s_barrier_wait -1
	global_inv scope:SCOPE_SE
	ds_load_2addr_b32 v[0:1], v10 offset0:104 offset1:194
	ds_load_2addr_b32 v[2:3], v13 offset0:28 offset1:118
	;; [unrolled: 1-line block ×4, first 2 shown]
	v_and_b32_e32 v19, 0xffff, v16
	ds_load_2addr_b32 v[16:17], v42 offset1:90
	v_sub_nc_u16 v18, v11, v21
	global_wb scope:SCOPE_SE
	s_wait_dscnt 0x0
	s_barrier_signal -1
	v_lshl_add_u32 v61, v19, 2, v57
	s_barrier_wait -1
	v_and_b32_e32 v25, 0xff, v18
	global_inv scope:SCOPE_SE
	v_mad_co_u64_u32 v[18:19], null, v25, 36, s[6:7]
	v_lshrrev_b32_e32 v23, 16, v0
	v_add_f16_e32 v20, v0, v2
	v_lshrrev_b32_e32 v21, 16, v4
	v_lshrrev_b32_e32 v22, 16, v6
	;; [unrolled: 1-line block ×3, first 2 shown]
	v_sub_f16_e32 v26, v6, v2
	v_sub_f16_e32 v27, v4, v0
	v_add_f16_e32 v28, v4, v6
	v_sub_f16_e32 v29, v2, v6
	v_sub_f16_e32 v30, v0, v4
	v_pk_add_f16 v31, v16, v4
	v_add_f16_e32 v34, v1, v3
	v_lshrrev_b32_e32 v35, 16, v5
	v_lshrrev_b32_e32 v58, 16, v7
	;; [unrolled: 1-line block ×4, first 2 shown]
	v_add_f16_e32 v65, v5, v7
	v_pk_add_f16 v68, v17, v5
	v_lshrrev_b32_e32 v32, 16, v16
	v_sub_f16_e32 v33, v0, v2
	v_sub_f16_e32 v63, v7, v3
	;; [unrolled: 1-line block ×5, first 2 shown]
	v_lshrrev_b32_e32 v69, 16, v17
	v_sub_f16_e32 v70, v1, v3
	v_fma_f16 v20, -0.5, v20, v16
	v_sub_f16_e32 v71, v21, v22
	v_sub_f16_e32 v72, v23, v24
	v_add_f16_e32 v26, v27, v26
	v_fma_f16 v16, -0.5, v28, v16
	v_add_f16_e32 v27, v30, v29
	v_pk_add_f16 v0, v31, v0
	v_add_f16_e32 v28, v23, v24
	v_sub_f16_e32 v29, v21, v23
	v_sub_f16_e32 v30, v22, v24
	v_add_f16_e32 v31, v21, v22
	v_sub_f16_e32 v21, v23, v21
	v_sub_f16_e32 v22, v24, v22
	v_fma_f16 v23, -0.5, v34, v17
	v_sub_f16_e32 v24, v35, v58
	v_sub_f16_e32 v34, v60, v62
	v_fma_f16 v17, -0.5, v65, v17
	v_pk_add_f16 v1, v68, v1
	v_add_f16_e32 v65, v60, v62
	v_add_f16_e32 v68, v35, v58
	v_sub_f16_e32 v5, v5, v7
	v_add_f16_e32 v63, v64, v63
	v_add_f16_e32 v64, v67, v66
	v_sub_f16_e32 v66, v35, v60
	v_sub_f16_e32 v67, v58, v62
	;; [unrolled: 1-line block ×4, first 2 shown]
	v_pk_add_f16 v0, v0, v2
	v_fma_f16 v2, -0.5, v28, v32
	v_add_f16_e32 v28, v29, v30
	v_fmac_f16_e32 v32, -0.5, v31
	v_add_f16_e32 v21, v21, v22
	v_fmamk_f16 v22, v24, 0x3b9c, v23
	v_fmamk_f16 v29, v34, 0xbb9c, v17
	v_fmac_f16_e32 v17, 0x3b9c, v34
	v_pk_add_f16 v1, v1, v3
	v_fma_f16 v30, -0.5, v65, v69
	v_fmac_f16_e32 v69, -0.5, v68
	v_sub_f16_e32 v4, v4, v6
	v_fmac_f16_e32 v23, 0xbb9c, v24
	v_add_f16_e32 v35, v35, v58
	v_fmamk_f16 v58, v33, 0x3b9c, v32
	v_fmac_f16_e32 v32, 0xbb9c, v33
	v_fmac_f16_e32 v22, 0x38b4, v34
	;; [unrolled: 1-line block ×4, first 2 shown]
	v_pk_add_f16 v1, v1, v7
	v_fmamk_f16 v7, v5, 0xbb9c, v30
	v_fmamk_f16 v24, v70, 0x3b9c, v69
	v_fmac_f16_e32 v69, 0xbb9c, v70
	v_fmac_f16_e32 v30, 0x3b9c, v5
	v_fmamk_f16 v60, v71, 0x3b9c, v20
	v_fmac_f16_e32 v20, 0xbb9c, v71
	v_add_f16_e32 v31, v66, v67
	v_pk_add_f16 v3, v0, v6
	v_fmac_f16_e32 v58, 0xb8b4, v4
	v_fmac_f16_e32 v32, 0x38b4, v4
	;; [unrolled: 1-line block ×9, first 2 shown]
	v_fmamk_f16 v62, v72, 0xbb9c, v16
	v_fmac_f16_e32 v16, 0x3b9c, v72
	v_fmac_f16_e32 v60, 0x38b4, v72
	;; [unrolled: 1-line block ×3, first 2 shown]
	v_fmamk_f16 v6, v4, 0xbb9c, v2
	v_fmac_f16_e32 v17, 0x34f2, v64
	v_pk_add_f16 v0, v3, v1
	v_pk_add_f16 v3, v3, v1 neg_lo:[0,1] neg_hi:[0,1]
	v_fmac_f16_e32 v58, 0x34f2, v21
	v_fmac_f16_e32 v32, 0x34f2, v21
	;; [unrolled: 1-line block ×5, first 2 shown]
	v_mul_f16_e32 v1, 0x3a79, v22
	v_mul_f16_e32 v21, 0xb8b4, v22
	v_fmac_f16_e32 v2, 0x3b9c, v4
	v_fmac_f16_e32 v23, 0x34f2, v63
	;; [unrolled: 1-line block ×3, first 2 shown]
	v_mul_f16_e32 v22, 0xbb9c, v29
	v_fmac_f16_e32 v62, 0x38b4, v71
	v_fmac_f16_e32 v16, 0xb8b4, v71
	;; [unrolled: 1-line block ×5, first 2 shown]
	v_mul_f16_e32 v4, 0x34f2, v17
	v_fmac_f16_e32 v1, 0x38b4, v7
	v_mul_f16_e32 v26, 0x3b9c, v24
	v_fmac_f16_e32 v21, 0x3a79, v7
	;; [unrolled: 2-line block ×5, first 2 shown]
	v_fmac_f16_e32 v16, 0x34f2, v27
	v_fmac_f16_e32 v6, 0x34f2, v28
	v_fma_f16 v4, v69, 0x3b9c, -v4
	v_fmac_f16_e32 v26, 0x34f2, v29
	v_fma_f16 v7, v17, 0xbb9c, -v7
	;; [unrolled: 2-line block ×3, first 2 shown]
	v_fma_f16 v17, v23, 0xb8b4, -v24
	v_add_f16_e32 v27, v60, v1
	v_add_f16_e32 v28, v16, v4
	;; [unrolled: 1-line block ×4, first 2 shown]
	v_sub_f16_e32 v16, v16, v4
	v_sub_f16_e32 v4, v6, v21
	v_add_f16_e32 v6, v62, v26
	v_add_f16_e32 v21, v32, v7
	v_add_f16_e32 v29, v20, v5
	v_sub_f16_e32 v23, v60, v1
	v_sub_f16_e32 v20, v20, v5
	;; [unrolled: 1-line block ×3, first 2 shown]
	v_add_f16_e32 v22, v2, v17
	v_sub_f16_e32 v24, v62, v26
	v_sub_f16_e32 v26, v32, v7
	v_sub_f16_e32 v17, v2, v17
	v_pack_b32_f16 v1, v27, v30
	v_pack_b32_f16 v7, v28, v21
	;; [unrolled: 1-line block ×8, first 2 shown]
	ds_store_2addr_b64 v61, v[0:1], v[6:7] offset1:1
	ds_store_2addr_b64 v61, v[2:3], v[4:5] offset0:2 offset1:3
	ds_store_b64 v61, v[16:17] offset:32
	global_wb scope:SCOPE_SE
	s_wait_dscnt 0x0
	s_barrier_signal -1
	s_barrier_wait -1
	global_inv scope:SCOPE_SE
	s_clause 0x2
	global_load_b128 v[0:3], v[18:19], off
	global_load_b128 v[4:7], v[18:19], off offset:16
	global_load_b32 v58, v[18:19], off offset:32
	v_and_b32_e32 v21, 0xffff, v15
	ds_load_2addr_b32 v[15:16], v42 offset1:90
	ds_load_2addr_b32 v[17:18], v12 offset0:52 offset1:142
	ds_load_2addr_b32 v[19:20], v10 offset0:104 offset1:194
	v_mul_u32_u24_e32 v26, 0x64, v21
	ds_load_2addr_b32 v[21:22], v13 offset0:28 offset1:118
	ds_load_2addr_b32 v[23:24], v14 offset0:80 offset1:170
	global_wb scope:SCOPE_SE
	s_wait_loadcnt_dscnt 0x0
	s_barrier_signal -1
	s_barrier_wait -1
	v_add_nc_u32_e32 v14, v26, v25
	global_inv scope:SCOPE_SE
	v_lshl_add_u32 v60, v14, 2, v57
	v_lshrrev_b32_e32 v25, 16, v16
	v_lshrrev_b32_e32 v26, 16, v17
	;; [unrolled: 1-line block ×19, first 2 shown]
	v_mul_f16_e32 v34, v25, v70
	v_mul_f16_e32 v35, v16, v70
	;; [unrolled: 1-line block ×18, first 2 shown]
	v_fma_f16 v16, v16, v0, -v34
	v_fmac_f16_e32 v35, v25, v0
	v_fma_f16 v17, v17, v1, -v71
	v_fmac_f16_e32 v72, v26, v1
	;; [unrolled: 2-line block ×9, first 2 shown]
	v_add_f16_e32 v25, v15, v17
	v_add_f16_e32 v26, v19, v21
	v_sub_f16_e32 v29, v17, v19
	v_sub_f16_e32 v30, v23, v21
	v_add_f16_e32 v31, v17, v23
	v_sub_f16_e32 v32, v19, v17
	v_sub_f16_e32 v33, v21, v23
	v_add_f16_e32 v34, v14, v72
	v_add_f16_e32 v71, v76, v80
	v_sub_f16_e32 v75, v72, v76
	v_sub_f16_e32 v77, v84, v80
	v_add_f16_e32 v83, v16, v18
	v_add_f16_e32 v85, v20, v22
	;; [unrolled: 1-line block ×6, first 2 shown]
	v_sub_f16_e32 v27, v72, v84
	v_sub_f16_e32 v28, v76, v80
	;; [unrolled: 1-line block ×3, first 2 shown]
	v_add_f16_e32 v79, v72, v84
	v_sub_f16_e32 v72, v76, v72
	v_sub_f16_e32 v87, v74, v86
	;; [unrolled: 1-line block ×6, first 2 shown]
	v_add_f16_e32 v19, v25, v19
	v_add_f16_e32 v25, v29, v30
	v_fma_f16 v26, -0.5, v26, v15
	v_fmac_f16_e32 v15, -0.5, v31
	v_add_f16_e32 v29, v32, v33
	v_add_f16_e32 v30, v34, v76
	;; [unrolled: 1-line block ×3, first 2 shown]
	v_fma_f16 v32, -0.5, v71, v14
	v_add_f16_e32 v20, v83, v20
	v_fma_f16 v71, -0.5, v85, v16
	v_add_f16_e32 v75, v94, v78
	v_fma_f16 v76, -0.5, v95, v35
	v_sub_f16_e32 v81, v80, v84
	v_sub_f16_e32 v88, v78, v82
	v_fmac_f16_e32 v16, -0.5, v91
	v_fmac_f16_e32 v35, -0.5, v99
	v_sub_f16_e32 v90, v24, v22
	v_sub_f16_e32 v93, v22, v24
	;; [unrolled: 1-line block ×5, first 2 shown]
	v_fmac_f16_e32 v14, -0.5, v79
	v_add_f16_e32 v20, v20, v22
	v_fmamk_f16 v22, v87, 0x3b9c, v71
	v_add_f16_e32 v75, v75, v82
	v_fmamk_f16 v82, v18, 0xbb9c, v76
	v_sub_f16_e32 v74, v78, v74
	v_add_f16_e32 v33, v72, v81
	v_fmamk_f16 v81, v88, 0xbb9c, v16
	v_fmac_f16_e32 v16, 0x3b9c, v88
	v_fmamk_f16 v83, v96, 0x3b9c, v35
	v_fmac_f16_e32 v35, 0xbb9c, v96
	v_sub_f16_e32 v17, v17, v23
	v_fmac_f16_e32 v71, 0xbb9c, v87
	v_fmac_f16_e32 v76, 0x3b9c, v18
	v_add_f16_e32 v34, v89, v90
	v_add_f16_e32 v77, v97, v98
	;; [unrolled: 1-line block ×4, first 2 shown]
	v_fmamk_f16 v80, v73, 0x3b9c, v14
	v_fmac_f16_e32 v14, 0xbb9c, v73
	v_fmac_f16_e32 v22, 0x38b4, v88
	;; [unrolled: 1-line block ×3, first 2 shown]
	v_add_f16_e32 v72, v92, v93
	v_add_f16_e32 v74, v74, v100
	v_fmamk_f16 v21, v27, 0x3b9c, v26
	v_fmac_f16_e32 v26, 0xbb9c, v27
	v_fmamk_f16 v78, v28, 0xbb9c, v15
	v_fmac_f16_e32 v15, 0x3b9c, v28
	v_fmac_f16_e32 v81, 0x38b4, v87
	;; [unrolled: 1-line block ×5, first 2 shown]
	v_fmamk_f16 v79, v17, 0xbb9c, v32
	v_fmac_f16_e32 v32, 0x3b9c, v17
	v_fmac_f16_e32 v71, 0xb8b4, v88
	;; [unrolled: 1-line block ×3, first 2 shown]
	v_add_f16_e32 v19, v19, v23
	v_add_f16_e32 v23, v30, v84
	v_fmac_f16_e32 v80, 0xb8b4, v17
	v_fmac_f16_e32 v14, 0x38b4, v17
	v_add_f16_e32 v17, v20, v24
	v_add_f16_e32 v20, v75, v86
	v_fmac_f16_e32 v22, 0x34f2, v34
	v_fmac_f16_e32 v82, 0x34f2, v77
	v_fmac_f16_e32 v21, 0x38b4, v28
	v_fmac_f16_e32 v26, 0xb8b4, v28
	v_fmac_f16_e32 v78, 0x38b4, v27
	v_fmac_f16_e32 v15, 0xb8b4, v27
	v_fmac_f16_e32 v81, 0x34f2, v72
	v_fmac_f16_e32 v16, 0x34f2, v72
	v_fmac_f16_e32 v83, 0x34f2, v74
	v_fmac_f16_e32 v35, 0x34f2, v74
	v_fmac_f16_e32 v79, 0xb8b4, v73
	v_fmac_f16_e32 v32, 0x38b4, v73
	v_fmac_f16_e32 v71, 0x34f2, v34
	v_fmac_f16_e32 v76, 0x34f2, v77
	v_add_f16_e32 v18, v19, v17
	v_add_f16_e32 v24, v23, v20
	v_sub_f16_e32 v17, v19, v17
	v_sub_f16_e32 v19, v23, v20
	v_mul_f16_e32 v20, 0x38b4, v82
	v_mul_f16_e32 v28, 0xb8b4, v22
	v_fmac_f16_e32 v21, 0x34f2, v25
	v_fmac_f16_e32 v26, 0x34f2, v25
	;; [unrolled: 1-line block ×4, first 2 shown]
	v_mul_f16_e32 v23, 0x3b9c, v83
	v_mul_f16_e32 v25, 0x34f2, v16
	;; [unrolled: 1-line block ×4, first 2 shown]
	v_fmac_f16_e32 v79, 0x34f2, v31
	v_fmac_f16_e32 v32, 0x34f2, v31
	v_mul_f16_e32 v27, 0x3a79, v71
	v_mul_f16_e32 v31, 0x3a79, v76
	v_fmac_f16_e32 v20, 0x3a79, v22
	v_fmac_f16_e32 v28, 0x3a79, v82
	;; [unrolled: 1-line block ×4, first 2 shown]
	v_pack_b32_f16 v17, v17, v19
	v_fmac_f16_e32 v23, 0x34f2, v81
	v_fma_f16 v19, v35, 0x3b9c, -v25
	v_fmac_f16_e32 v29, 0x34f2, v83
	v_fma_f16 v16, v16, 0xbb9c, -v30
	v_pack_b32_f16 v18, v18, v24
	v_fma_f16 v22, v76, 0x38b4, -v27
	v_fma_f16 v24, v71, 0xb8b4, -v31
	v_add_f16_e32 v25, v21, v20
	v_add_f16_e32 v33, v79, v28
	;; [unrolled: 1-line block ×8, first 2 shown]
	v_sub_f16_e32 v20, v21, v20
	v_sub_f16_e32 v21, v78, v23
	;; [unrolled: 1-line block ×8, first 2 shown]
	v_pack_b32_f16 v16, v25, v33
	v_pack_b32_f16 v23, v27, v34
	;; [unrolled: 1-line block ×8, first 2 shown]
	ds_store_2addr_b32 v60, v18, v16 offset1:10
	ds_store_2addr_b32 v60, v23, v24 offset0:20 offset1:30
	ds_store_2addr_b32 v60, v25, v17 offset0:40 offset1:50
	;; [unrolled: 1-line block ×4, first 2 shown]
	global_wb scope:SCOPE_SE
	s_wait_dscnt 0x0
	s_barrier_signal -1
	s_barrier_wait -1
	global_inv scope:SCOPE_SE
	ds_load_2addr_b32 v[28:29], v42 offset1:90
	ds_load_2addr_b32 v[24:25], v12 offset0:52 offset1:172
	ds_load_2addr_b32 v[30:31], v13 offset0:88 offset1:178
	;; [unrolled: 1-line block ×3, first 2 shown]
	ds_load_b32 v32, v42 offset:3120
	v_mov_b32_e32 v10, s0
                                        ; implicit-def: $vgpr33
                                        ; implicit-def: $vgpr35
                                        ; implicit-def: $vgpr34
                                        ; implicit-def: $vgpr78
	s_and_saveexec_b32 s0, vcc_lo
	s_cbranch_execz .LBB0_3
; %bb.2:
	ds_load_b32 v88, v42 offset:1080
	ds_load_b32 v33, v42 offset:2280
	;; [unrolled: 1-line block ×3, first 2 shown]
	s_wait_dscnt 0x2
	v_lshrrev_b32_e32 v89, 16, v88
	s_wait_dscnt 0x1
	v_lshrrev_b32_e32 v35, 16, v33
	;; [unrolled: 2-line block ×3, first 2 shown]
.LBB0_3:
	s_wait_alu 0xfffe
	s_or_b32 exec_lo, exec_lo, s0
	v_add_co_u32 v16, s0, 0x5a, v9
	s_wait_alu 0xf1ff
	v_add_co_ci_u32_e64 v17, null, 0, 0, s0
	v_add_co_u32 v12, s0, v9, -10
	s_wait_alu 0xf1ff
	v_add_co_ci_u32_e64 v13, null, 0, -1, s0
	v_cmp_gt_u16_e64 s0, 10, v9
	v_lshlrev_b64_e32 v[10:11], 3, v[9:10]
	s_wait_dscnt 0x3
	v_lshrrev_b32_e32 v82, 16, v25
	s_wait_dscnt 0x2
	v_lshrrev_b32_e32 v83, 16, v30
	;; [unrolled: 2-line block ×3, first 2 shown]
	s_wait_alu 0xf1ff
	v_cndmask_b32_e64 v72, v13, v17, s0
	v_cndmask_b32_e64 v71, v12, v16, s0
	v_add_co_u32 v20, s0, 0xb4, v9
	s_wait_alu 0xf1ff
	v_add_co_ci_u32_e64 v21, null, 0, 0, s0
	s_delay_alu instid0(VALU_DEP_3) | instskip(NEXT) | instid1(VALU_DEP_3)
	v_lshlrev_b64_e32 v[12:13], 3, v[71:72]
	v_lshrrev_b16 v14, 2, v20
	v_add_co_u32 v22, s1, s6, v10
	s_wait_alu 0xf1ff
	v_add_co_ci_u32_e64 v23, s1, s7, v11, s1
	s_delay_alu instid0(VALU_DEP_4)
	v_add_co_u32 v12, s0, s6, v12
	s_wait_alu 0xf1ff
	v_add_co_ci_u32_e64 v13, s0, s7, v13, s0
	v_add_co_u32 v74, s0, 0x10e, v9
	v_and_b32_e32 v14, 0xffff, v14
	s_clause 0x1
	global_load_b64 v[10:11], v[22:23], off offset:360
	global_load_b64 v[12:13], v[12:13], off offset:360
	v_lshrrev_b16 v15, 2, v74
	s_wait_alu 0xf1ff
	v_add_co_ci_u32_e64 v75, null, 0, 0, s0
	v_mul_u32_u24_e32 v14, 0x147b, v14
	v_lshrrev_b32_e32 v86, 16, v31
	v_and_b32_e32 v15, 0xffff, v15
	v_lshrrev_b32_e32 v81, 16, v28
	v_lshrrev_b32_e32 v85, 16, v29
	;; [unrolled: 1-line block ×4, first 2 shown]
	v_mul_u32_u24_e32 v15, 0x147b, v15
	s_wait_dscnt 0x0
	v_lshrrev_b32_e32 v91, 16, v32
	v_lshrrev_b32_e32 v87, 16, v24
	s_delay_alu instid0(VALU_DEP_3) | instskip(SKIP_1) | instid1(VALU_DEP_2)
	v_lshrrev_b32_e32 v14, 17, v15
	v_mul_lo_u16 v15, 0x64, v76
	v_mul_lo_u16 v14, 0x64, v14
	s_delay_alu instid0(VALU_DEP_2) | instskip(NEXT) | instid1(VALU_DEP_2)
	v_sub_nc_u16 v77, v20, v15
	v_sub_nc_u16 v79, v74, v14
	s_delay_alu instid0(VALU_DEP_2) | instskip(NEXT) | instid1(VALU_DEP_2)
	v_lshlrev_b16 v14, 3, v77
	v_lshlrev_b16 v15, 3, v79
	s_delay_alu instid0(VALU_DEP_2) | instskip(NEXT) | instid1(VALU_DEP_2)
	v_and_b32_e32 v14, 0xffff, v14
	v_and_b32_e32 v18, 0xffff, v15
	s_delay_alu instid0(VALU_DEP_2) | instskip(SKIP_2) | instid1(VALU_DEP_3)
	v_add_co_u32 v14, s0, s6, v14
	s_wait_alu 0xf1ff
	v_add_co_ci_u32_e64 v15, null, s7, 0, s0
	v_add_co_u32 v72, s0, s6, v18
	s_wait_alu 0xf1ff
	v_add_co_ci_u32_e64 v73, null, s7, 0, s0
	s_clause 0x1
	global_load_b64 v[18:19], v[14:15], off offset:360
	global_load_b64 v[14:15], v[72:73], off offset:360
	v_cmp_lt_u16_e64 s0, 9, v9
	v_mad_u16 v73, 0x12c, v76, v77
	global_wb scope:SCOPE_SE
	s_wait_loadcnt 0x0
	s_barrier_signal -1
	s_barrier_wait -1
	s_wait_alu 0xf1ff
	v_cndmask_b32_e64 v72, 0, 0x12c, s0
	global_inv scope:SCOPE_SE
	v_and_b32_e32 v73, 0xffff, v73
	v_add_nc_u32_e32 v71, v71, v72
	s_delay_alu instid0(VALU_DEP_2) | instskip(NEXT) | instid1(VALU_DEP_2)
	v_lshl_add_u32 v73, v73, 2, v57
	v_lshl_add_u32 v72, v71, 2, v57
	v_and_b32_e32 v71, 0xffff, v79
	v_lshrrev_b32_e32 v80, 16, v10
	v_lshrrev_b32_e32 v77, 16, v11
	;; [unrolled: 1-line block ×3, first 2 shown]
	s_delay_alu instid0(VALU_DEP_3) | instskip(SKIP_1) | instid1(VALU_DEP_4)
	v_mul_f16_e32 v76, v82, v80
	v_mul_f16_e32 v92, v25, v80
	;; [unrolled: 1-line block ×4, first 2 shown]
	s_delay_alu instid0(VALU_DEP_4)
	v_fma_f16 v25, v25, v10, -v76
	v_lshrrev_b32_e32 v76, 16, v13
	v_fmac_f16_e32 v92, v82, v10
	v_fma_f16 v30, v30, v11, -v93
	v_fmac_f16_e32 v94, v83, v11
	v_mul_f16_e32 v82, v84, v79
	v_mul_f16_e32 v83, v26, v79
	;; [unrolled: 1-line block ×4, first 2 shown]
	v_add_f16_e32 v97, v25, v30
	v_sub_f16_e32 v98, v92, v94
	v_add_f16_e32 v99, v81, v92
	v_add_f16_e32 v92, v92, v94
	v_fma_f16 v26, v26, v12, -v82
	v_fmac_f16_e32 v83, v84, v12
	v_fma_f16 v31, v31, v13, -v93
	v_fmac_f16_e32 v95, v86, v13
	v_add_f16_e32 v96, v28, v25
	v_sub_f16_e32 v25, v25, v30
	v_fma_f16 v28, -0.5, v97, v28
	v_fmac_f16_e32 v81, -0.5, v92
	v_add_f16_e32 v82, v99, v94
	v_add_f16_e32 v92, v26, v31
	v_sub_f16_e32 v93, v83, v95
	v_add_f16_e32 v94, v85, v83
	v_add_f16_e32 v83, v83, v95
	;; [unrolled: 1-line block ×3, first 2 shown]
	v_fmamk_f16 v84, v98, 0x3aee, v28
	v_fmamk_f16 v86, v25, 0xbaee, v81
	v_fmac_f16_e32 v28, 0xbaee, v98
	v_fmac_f16_e32 v81, 0x3aee, v25
	v_add_f16_e32 v25, v29, v26
	v_sub_f16_e32 v26, v26, v31
	v_fmac_f16_e32 v29, -0.5, v92
	v_fmac_f16_e32 v85, -0.5, v83
	v_pack_b32_f16 v30, v30, v82
	v_pack_b32_f16 v82, v84, v86
	;; [unrolled: 1-line block ×3, first 2 shown]
	v_add_f16_e32 v25, v25, v31
	v_add_f16_e32 v31, v94, v95
	v_fmamk_f16 v86, v93, 0x3aee, v29
	v_fmac_f16_e32 v29, 0xbaee, v93
	v_fmamk_f16 v92, v26, 0xbaee, v85
	v_fmac_f16_e32 v85, 0x3aee, v26
	v_lshrrev_b32_e32 v84, 16, v18
	v_lshrrev_b32_e32 v83, 16, v19
	ds_store_2addr_b32 v42, v30, v82 offset1:100
	ds_store_b32 v42, v28 offset:800
	v_lshrrev_b32_e32 v82, 16, v14
	v_lshrrev_b32_e32 v81, 16, v15
	v_pack_b32_f16 v25, v25, v31
	v_pack_b32_f16 v28, v29, v85
	v_mul_f16_e32 v29, v90, v84
	v_mul_f16_e32 v30, v27, v84
	;; [unrolled: 1-line block ×4, first 2 shown]
	v_pack_b32_f16 v26, v86, v92
	v_mul_f16_e32 v86, v35, v82
	v_mul_f16_e32 v92, v33, v82
	;; [unrolled: 1-line block ×4, first 2 shown]
	v_fma_f16 v27, v27, v18, -v29
	v_fmac_f16_e32 v30, v90, v18
	v_fma_f16 v29, v32, v19, -v31
	v_fmac_f16_e32 v85, v91, v19
	v_fma_f16 v31, v33, v14, -v86
	v_fmac_f16_e32 v92, v35, v14
	v_fma_f16 v32, v34, v15, -v93
	v_fmac_f16_e32 v94, v78, v15
	v_add_f16_e32 v34, v27, v29
	v_sub_f16_e32 v35, v30, v85
	v_add_f16_e32 v78, v87, v30
	v_add_f16_e32 v30, v30, v85
	v_add_f16_e32 v91, v31, v32
	v_sub_f16_e32 v93, v92, v94
	v_add_f16_e32 v95, v89, v92
	v_add_f16_e32 v92, v92, v94
	;; [unrolled: 1-line block ×3, first 2 shown]
	v_sub_f16_e32 v27, v27, v29
	v_add_f16_e32 v86, v88, v31
	v_fmac_f16_e32 v24, -0.5, v34
	v_fmac_f16_e32 v87, -0.5, v30
	v_sub_f16_e32 v31, v31, v32
	v_fmac_f16_e32 v88, -0.5, v91
	v_fmac_f16_e32 v89, -0.5, v92
	v_add_f16_e32 v29, v33, v29
	v_add_f16_e32 v33, v78, v85
	;; [unrolled: 1-line block ×3, first 2 shown]
	v_fmamk_f16 v30, v35, 0x3aee, v24
	v_fmamk_f16 v32, v27, 0xbaee, v87
	v_fmac_f16_e32 v24, 0xbaee, v35
	v_fmac_f16_e32 v87, 0x3aee, v27
	v_add_f16_e32 v91, v95, v94
	v_fmamk_f16 v92, v93, 0x3aee, v88
	v_fmac_f16_e32 v88, 0xbaee, v93
	v_fmamk_f16 v93, v31, 0xbaee, v89
	v_fmac_f16_e32 v89, 0x3aee, v31
	v_pack_b32_f16 v27, v29, v33
	v_pack_b32_f16 v29, v30, v32
	;; [unrolled: 1-line block ×3, first 2 shown]
	ds_store_2addr_b32 v72, v25, v26 offset1:100
	ds_store_b32 v72, v28 offset:800
	ds_store_2addr_b32 v73, v27, v29 offset1:100
	ds_store_b32 v73, v24 offset:800
	s_and_saveexec_b32 s0, vcc_lo
	s_cbranch_execz .LBB0_5
; %bb.4:
	v_lshl_add_u32 v24, v71, 2, v57
	v_perm_b32 v25, v91, v90, 0x5040100
	v_perm_b32 v26, v93, v92, 0x5040100
	;; [unrolled: 1-line block ×3, first 2 shown]
	s_delay_alu instid0(VALU_DEP_4)
	v_add_nc_u32_e32 v27, 0x800, v24
	ds_store_2addr_b32 v27, v25, v26 offset0:88 offset1:188
	ds_store_b32 v24, v28 offset:3200
.LBB0_5:
	s_wait_alu 0xfffe
	s_or_b32 exec_lo, exec_lo, s0
	v_add_nc_u32_e32 v24, 0x200, v42
	v_add_nc_u32_e32 v25, 0x800, v42
	;; [unrolled: 1-line block ×3, first 2 shown]
	global_wb scope:SCOPE_SE
	s_wait_dscnt 0x0
	s_barrier_signal -1
	s_barrier_wait -1
	global_inv scope:SCOPE_SE
	ds_load_2addr_b32 v[30:31], v42 offset1:90
	ds_load_2addr_b32 v[28:29], v24 offset0:52 offset1:172
	ds_load_2addr_b32 v[34:35], v25 offset0:88 offset1:178
	;; [unrolled: 1-line block ×3, first 2 shown]
	ds_load_b32 v94, v42 offset:3120
	v_add_co_u32 v26, s0, s4, v59
	s_wait_alu 0xf1ff
	v_add_co_ci_u32_e64 v27, null, s5, 0, s0
	s_and_saveexec_b32 s0, vcc_lo
	s_cbranch_execz .LBB0_7
; %bb.6:
	ds_load_b32 v90, v42 offset:1080
	ds_load_b32 v92, v42 offset:2280
	;; [unrolled: 1-line block ×3, first 2 shown]
	s_wait_dscnt 0x2
	v_lshrrev_b32_e32 v91, 16, v90
	s_wait_dscnt 0x1
	v_lshrrev_b32_e32 v93, 16, v92
	;; [unrolled: 2-line block ×3, first 2 shown]
.LBB0_7:
	s_wait_alu 0xfffe
	s_or_b32 exec_lo, exec_lo, s0
	v_lshlrev_b64_e32 v[16:17], 3, v[16:17]
	v_lshlrev_b64_e32 v[20:21], 3, v[20:21]
	global_load_b64 v[22:23], v[22:23], off offset:1160
	s_wait_dscnt 0x3
	v_lshrrev_b32_e32 v85, 16, v29
	s_wait_dscnt 0x2
	v_lshrrev_b32_e32 v86, 16, v34
	v_lshrrev_b32_e32 v95, 16, v30
	v_add_co_u32 v16, s0, s6, v16
	s_wait_alu 0xf1ff
	v_add_co_ci_u32_e64 v17, s0, s7, v17, s0
	v_add_co_u32 v20, s0, s6, v20
	s_wait_alu 0xf1ff
	v_add_co_ci_u32_e64 v21, s0, s7, v21, s0
	s_wait_dscnt 0x1
	v_lshrrev_b32_e32 v97, 16, v32
	s_clause 0x1
	global_load_b64 v[24:25], v[16:17], off offset:1160
	global_load_b64 v[20:21], v[20:21], off offset:1160
	v_add_co_u32 v16, s0, 0xffffffe2, v9
	s_wait_alu 0xf1ff
	v_add_co_ci_u32_e64 v17, null, 0, -1, s0
	v_lshrrev_b32_e32 v98, 16, v35
	s_delay_alu instid0(VALU_DEP_3) | instskip(SKIP_1) | instid1(VALU_DEP_4)
	v_cndmask_b32_e32 v16, v16, v74, vcc_lo
	v_lshrrev_b32_e32 v100, 16, v33
	v_cndmask_b32_e32 v17, v17, v75, vcc_lo
	s_wait_dscnt 0x0
	v_lshrrev_b32_e32 v101, 16, v94
	v_lshrrev_b32_e32 v96, 16, v31
	;; [unrolled: 1-line block ×3, first 2 shown]
	v_lshl_add_u32 v74, v9, 2, v57
	v_lshlrev_b64_e32 v[16:17], 3, v[16:17]
	s_delay_alu instid0(VALU_DEP_1) | instskip(SKIP_1) | instid1(VALU_DEP_2)
	v_add_co_u32 v16, s0, s6, v16
	s_wait_alu 0xf1ff
	v_add_co_ci_u32_e64 v17, s0, s7, v17, s0
	global_load_b64 v[16:17], v[16:17], off offset:1160
	s_wait_loadcnt 0x3
	v_lshrrev_b32_e32 v78, 16, v22
	v_lshrrev_b32_e32 v75, 16, v23
	s_delay_alu instid0(VALU_DEP_2) | instskip(SKIP_1) | instid1(VALU_DEP_3)
	v_mul_f16_e32 v87, v85, v78
	v_mul_f16_e32 v102, v29, v78
	;; [unrolled: 1-line block ×4, first 2 shown]
	s_delay_alu instid0(VALU_DEP_4) | instskip(NEXT) | instid1(VALU_DEP_4)
	v_fma_f16 v29, v29, v22, -v87
	v_fmac_f16_e32 v102, v85, v22
	s_delay_alu instid0(VALU_DEP_4) | instskip(NEXT) | instid1(VALU_DEP_4)
	v_fma_f16 v103, v34, v23, -v103
	v_fmac_f16_e32 v104, v86, v23
	s_wait_loadcnt 0x2
	v_lshrrev_b32_e32 v87, 16, v24
	v_lshrrev_b32_e32 v86, 16, v25
	s_wait_loadcnt 0x1
	v_lshrrev_b32_e32 v85, 16, v20
	v_lshrrev_b32_e32 v34, 16, v21
	v_add_f16_e32 v105, v30, v29
	v_add_f16_e32 v106, v29, v103
	v_sub_f16_e32 v107, v102, v104
	v_add_f16_e32 v108, v95, v102
	v_add_f16_e32 v102, v102, v104
	v_sub_f16_e32 v109, v29, v103
	v_mul_f16_e32 v29, v97, v87
	v_mul_f16_e32 v110, v32, v87
	;; [unrolled: 1-line block ×8, first 2 shown]
	v_add_f16_e32 v103, v105, v103
	v_fma_f16 v105, -0.5, v106, v30
	v_add_f16_e32 v104, v108, v104
	v_fmac_f16_e32 v95, -0.5, v102
	v_fma_f16 v32, v32, v24, -v29
	v_fmac_f16_e32 v110, v97, v24
	v_fmac_f16_e32 v112, v98, v25
	v_fmac_f16_e32 v114, v100, v20
	v_fmac_f16_e32 v116, v101, v21
	s_wait_loadcnt 0x0
	v_lshrrev_b32_e32 v30, 16, v16
	v_lshrrev_b32_e32 v29, 16, v17
	v_fma_f16 v97, v35, v25, -v111
	v_fma_f16 v33, v33, v20, -v113
	;; [unrolled: 1-line block ×3, first 2 shown]
	v_fmamk_f16 v100, v107, 0x3aee, v105
	v_fmamk_f16 v101, v109, 0xbaee, v95
	v_fmac_f16_e32 v95, 0x3aee, v109
	v_pack_b32_f16 v102, v103, v104
	v_mul_f16_e32 v103, v93, v30
	v_mul_f16_e32 v94, v92, v30
	;; [unrolled: 1-line block ×4, first 2 shown]
	v_sub_f16_e32 v108, v110, v112
	v_add_f16_e32 v109, v96, v110
	v_add_f16_e32 v110, v110, v112
	v_sub_f16_e32 v115, v114, v116
	v_add_f16_e32 v117, v99, v114
	v_add_f16_e32 v114, v114, v116
	v_fmac_f16_e32 v105, 0xbaee, v107
	v_add_f16_e32 v106, v31, v32
	v_add_f16_e32 v107, v32, v97
	v_sub_f16_e32 v32, v32, v97
	v_add_f16_e32 v111, v28, v33
	v_add_f16_e32 v113, v33, v98
	v_sub_f16_e32 v33, v33, v98
	v_pack_b32_f16 v100, v100, v101
	v_fma_f16 v92, v92, v16, -v103
	v_fmac_f16_e32 v94, v93, v16
	v_fma_f16 v88, v88, v17, -v104
	v_fmac_f16_e32 v35, v89, v17
	v_fmac_f16_e32 v96, -0.5, v110
	v_fmac_f16_e32 v99, -0.5, v114
	v_pack_b32_f16 v95, v105, v95
	v_add_f16_e32 v89, v106, v97
	v_fmac_f16_e32 v31, -0.5, v107
	v_add_f16_e32 v93, v109, v112
	v_fmac_f16_e32 v28, -0.5, v113
	ds_store_b32 v74, v100 offset:1200
	ds_store_b32 v74, v95 offset:2400
	v_fmamk_f16 v100, v32, 0xbaee, v96
	v_fmac_f16_e32 v96, 0x3aee, v32
	v_fmamk_f16 v103, v33, 0xbaee, v99
	v_fmac_f16_e32 v99, 0x3aee, v33
	v_add_f16_e32 v32, v92, v88
	v_add_f16_e32 v33, v94, v35
	v_add_f16_e32 v97, v111, v98
	v_add_f16_e32 v98, v117, v116
	v_fmamk_f16 v95, v108, 0x3aee, v31
	v_fmac_f16_e32 v31, 0xbaee, v108
	v_fmamk_f16 v101, v115, 0x3aee, v28
	v_fmac_f16_e32 v28, 0xbaee, v115
	v_sub_f16_e32 v104, v94, v35
	v_pack_b32_f16 v89, v89, v93
	v_sub_f16_e32 v93, v92, v88
	v_fma_f16 v32, -0.5, v32, v90
	v_fma_f16 v33, -0.5, v33, v91
	v_pack_b32_f16 v97, v97, v98
	ds_store_2addr_b32 v42, v102, v89 offset1:90
	v_pack_b32_f16 v89, v95, v100
	v_pack_b32_f16 v95, v31, v96
	;; [unrolled: 1-line block ×3, first 2 shown]
	v_fmamk_f16 v28, v104, 0x3aee, v32
	v_fmac_f16_e32 v32, 0xbaee, v104
	v_fmamk_f16 v31, v93, 0xbaee, v33
	v_fmac_f16_e32 v33, 0x3aee, v93
	v_pack_b32_f16 v96, v101, v103
	ds_store_b32 v74, v89 offset:1560
	ds_store_b32 v74, v95 offset:2760
	;; [unrolled: 1-line block ×5, first 2 shown]
	s_and_saveexec_b32 s0, vcc_lo
	s_cbranch_execz .LBB0_9
; %bb.8:
	v_add_f16_e32 v89, v91, v94
	v_add_f16_e32 v90, v90, v92
	s_delay_alu instid0(VALU_DEP_2) | instskip(NEXT) | instid1(VALU_DEP_2)
	v_add_f16_e32 v35, v89, v35
	v_add_f16_e32 v88, v90, v88
	v_perm_b32 v89, v33, v32, 0x5040100
	s_delay_alu instid0(VALU_DEP_2)
	v_pack_b32_f16 v35, v88, v35
	v_perm_b32 v88, v31, v28, 0x5040100
	ds_store_b32 v42, v35 offset:1080
	ds_store_b32 v74, v88 offset:2280
	;; [unrolled: 1-line block ×3, first 2 shown]
.LBB0_9:
	s_wait_alu 0xfffe
	s_or_b32 exec_lo, exec_lo, s0
	s_add_nc_u64 s[0:1], s[4:5], 0xe10
	global_wb scope:SCOPE_SE
	s_wait_dscnt 0x0
	s_barrier_signal -1
	s_barrier_wait -1
	global_inv scope:SCOPE_SE
	s_clause 0x9
	global_load_b32 v98, v[26:27], off offset:3600
	global_load_b32 v99, v59, s[0:1] offset:360
	global_load_b32 v100, v59, s[0:1] offset:720
	;; [unrolled: 1-line block ×9, first 2 shown]
	v_add_nc_u32_e32 v27, 0x200, v42
	v_add_nc_u32_e32 v26, 0x400, v42
	ds_load_2addr_b32 v[88:89], v42 offset1:90
	v_add_nc_u32_e32 v35, 0x800, v42
	v_add_nc_u32_e32 v107, 0xa00, v42
	ds_load_2addr_b32 v[90:91], v27 offset0:52 offset1:142
	ds_load_2addr_b32 v[92:93], v26 offset0:104 offset1:194
	;; [unrolled: 1-line block ×4, first 2 shown]
	s_wait_dscnt 0x4
	v_lshrrev_b32_e32 v108, 16, v88
	v_lshrrev_b32_e32 v109, 16, v89
	s_wait_dscnt 0x3
	v_lshrrev_b32_e32 v110, 16, v90
	v_lshrrev_b32_e32 v111, 16, v91
	s_wait_dscnt 0x2
	v_lshrrev_b32_e32 v112, 16, v92
	v_lshrrev_b32_e32 v113, 16, v93
	s_wait_dscnt 0x1
	v_lshrrev_b32_e32 v114, 16, v94
	v_lshrrev_b32_e32 v115, 16, v95
	s_wait_dscnt 0x0
	v_lshrrev_b32_e32 v116, 16, v96
	v_lshrrev_b32_e32 v117, 16, v97
	s_wait_loadcnt 0x9
	v_lshrrev_b32_e32 v118, 16, v98
	s_wait_loadcnt 0x8
	v_lshrrev_b32_e32 v119, 16, v99
	;; [unrolled: 2-line block ×10, first 2 shown]
	v_mul_f16_e64 v128, v108, v118
	v_mul_f16_e32 v118, v88, v118
	v_mul_f16_e64 v129, v109, v119
	v_mul_f16_e32 v119, v89, v119
	;; [unrolled: 2-line block ×10, first 2 shown]
	v_fma_f16 v88, v88, v98, -v128
	v_fmac_f16_e32 v118, v108, v98
	v_fma_f16 v89, v89, v99, -v129
	v_fmac_f16_e32 v119, v109, v99
	v_fma_f16 v90, v90, v100, -v130
	v_fmac_f16_e32 v120, v110, v100
	v_fma_f16 v91, v91, v101, -v131
	v_fmac_f16_e32 v121, v111, v101
	v_fma_f16 v92, v92, v102, -v132
	v_fmac_f16_e32 v122, v112, v102
	v_fma_f16 v93, v93, v103, -v133
	v_fmac_f16_e32 v123, v113, v103
	v_fma_f16 v94, v94, v104, -v134
	v_fmac_f16_e32 v124, v114, v104
	v_fma_f16 v95, v95, v105, -v135
	v_fmac_f16_e32 v125, v115, v105
	v_fma_f16 v96, v96, v106, -v136
	v_fmac_f16_e32 v126, v116, v106
	v_fma_f16 v97, v97, v59, -v137
	v_fmac_f16_e32 v127, v117, v59
	v_pack_b32_f16 v59, v88, v118
	v_pack_b32_f16 v88, v89, v119
	v_pack_b32_f16 v89, v90, v120
	v_pack_b32_f16 v90, v91, v121
	v_pack_b32_f16 v91, v92, v122
	v_pack_b32_f16 v92, v93, v123
	v_pack_b32_f16 v93, v94, v124
	v_pack_b32_f16 v94, v95, v125
	v_pack_b32_f16 v95, v96, v126
	v_pack_b32_f16 v96, v97, v127
	ds_store_2addr_b32 v42, v59, v88 offset1:90
	ds_store_2addr_b32 v27, v89, v90 offset0:52 offset1:142
	ds_store_2addr_b32 v26, v91, v92 offset0:104 offset1:194
	;; [unrolled: 1-line block ×4, first 2 shown]
	global_wb scope:SCOPE_SE
	s_wait_dscnt 0x0
	s_barrier_signal -1
	s_barrier_wait -1
	global_inv scope:SCOPE_SE
	ds_load_2addr_b32 v[88:89], v26 offset0:104 offset1:194
	ds_load_2addr_b32 v[90:91], v35 offset0:28 offset1:118
	;; [unrolled: 1-line block ×4, first 2 shown]
	ds_load_2addr_b32 v[96:97], v42 offset1:90
	global_wb scope:SCOPE_SE
	s_wait_dscnt 0x0
	s_barrier_signal -1
	s_barrier_wait -1
	global_inv scope:SCOPE_SE
	v_lshrrev_b32_e32 v100, 16, v88
	v_add_f16_e32 v59, v88, v90
	v_lshrrev_b32_e32 v98, 16, v92
	v_lshrrev_b32_e32 v99, 16, v94
	;; [unrolled: 1-line block ×3, first 2 shown]
	v_sub_f16_e32 v102, v94, v90
	v_sub_f16_e32 v103, v92, v88
	v_add_f16_e32 v104, v92, v94
	v_sub_f16_e32 v105, v90, v94
	v_sub_f16_e32 v106, v88, v92
	v_pk_add_f16 v108, v96, v92
	v_add_f16_e32 v111, v89, v91
	v_lshrrev_b32_e32 v112, 16, v93
	v_lshrrev_b32_e32 v113, 16, v95
	v_lshrrev_b32_e32 v114, 16, v89
	v_lshrrev_b32_e32 v115, 16, v91
	v_add_f16_e32 v118, v93, v95
	v_pk_add_f16 v121, v97, v93
	v_lshrrev_b32_e32 v109, 16, v96
	v_sub_f16_e32 v110, v88, v90
	v_sub_f16_e32 v117, v93, v89
	;; [unrolled: 1-line block ×3, first 2 shown]
	v_lshrrev_b32_e32 v122, 16, v97
	v_sub_f16_e32 v123, v89, v91
	v_fma_f16 v59, -0.5, v59, v96
	v_sub_f16_e32 v124, v98, v99
	v_sub_f16_e32 v125, v100, v101
	v_add_f16_e32 v102, v103, v102
	v_fma_f16 v96, -0.5, v104, v96
	v_add_f16_e32 v103, v106, v105
	v_pk_add_f16 v88, v108, v88
	v_add_f16_e32 v104, v100, v101
	v_sub_f16_e32 v105, v98, v100
	v_sub_f16_e32 v106, v99, v101
	v_add_f16_e32 v108, v98, v99
	v_sub_f16_e32 v98, v100, v98
	v_sub_f16_e32 v99, v101, v99
	v_fma_f16 v100, -0.5, v111, v97
	v_sub_f16_e32 v101, v112, v113
	v_sub_f16_e32 v111, v114, v115
	v_fma_f16 v97, -0.5, v118, v97
	v_pk_add_f16 v89, v121, v89
	v_add_f16_e32 v118, v114, v115
	v_add_f16_e32 v121, v112, v113
	v_sub_f16_e32 v116, v95, v91
	v_sub_f16_e32 v119, v91, v95
	;; [unrolled: 1-line block ×3, first 2 shown]
	v_pk_add_f16 v88, v88, v90
	v_fma_f16 v90, -0.5, v104, v109
	v_add_f16_e32 v104, v105, v106
	v_add_f16_e32 v98, v98, v99
	v_fmamk_f16 v99, v101, 0xbb9c, v100
	v_fmamk_f16 v105, v111, 0x3b9c, v97
	v_fmac_f16_e32 v97, 0xbb9c, v111
	v_pk_add_f16 v89, v89, v91
	v_fma_f16 v106, -0.5, v118, v122
	v_fmac_f16_e32 v122, -0.5, v121
	v_add_f16_e32 v116, v117, v116
	v_add_f16_e32 v117, v120, v119
	v_sub_f16_e32 v119, v112, v114
	v_sub_f16_e32 v120, v113, v115
	;; [unrolled: 1-line block ×4, first 2 shown]
	v_fmac_f16_e32 v109, -0.5, v108
	v_fmac_f16_e32 v100, 0x3b9c, v101
	v_fmac_f16_e32 v99, 0xb8b4, v111
	;; [unrolled: 1-line block ×4, first 2 shown]
	v_pk_add_f16 v89, v89, v95
	v_fmamk_f16 v95, v93, 0x3b9c, v106
	v_fmamk_f16 v101, v123, 0xbb9c, v122
	v_fmac_f16_e32 v122, 0x3b9c, v123
	v_fmac_f16_e32 v106, 0xbb9c, v93
	v_sub_f16_e32 v92, v92, v94
	v_add_f16_e32 v108, v119, v120
	v_add_f16_e32 v112, v112, v113
	v_pk_add_f16 v91, v88, v94
	v_fmamk_f16 v113, v110, 0xbb9c, v109
	v_fmac_f16_e32 v109, 0x3b9c, v110
	v_fmac_f16_e32 v99, 0x34f2, v116
	;; [unrolled: 1-line block ×5, first 2 shown]
	v_fmamk_f16 v114, v124, 0xbb9c, v59
	v_fmac_f16_e32 v59, 0x3b9c, v124
	v_fmamk_f16 v115, v125, 0x3b9c, v96
	v_fmac_f16_e32 v96, 0xbb9c, v125
	v_fmac_f16_e32 v106, 0xb8b4, v123
	v_fmamk_f16 v94, v92, 0x3b9c, v90
	v_fmac_f16_e32 v113, 0x38b4, v92
	v_fmac_f16_e32 v109, 0xb8b4, v92
	v_pk_add_f16 v88, v91, v89
	v_pk_add_f16 v91, v91, v89 neg_lo:[0,1] neg_hi:[0,1]
	v_fmac_f16_e32 v95, 0x34f2, v108
	v_fmac_f16_e32 v101, 0x34f2, v112
	;; [unrolled: 1-line block ×3, first 2 shown]
	v_mul_f16_e32 v89, 0x38b4, v99
	v_fmac_f16_e32 v114, 0xb8b4, v125
	v_fmac_f16_e32 v59, 0x38b4, v125
	;; [unrolled: 1-line block ×12, first 2 shown]
	v_mul_f16_e32 v92, 0xb8b4, v95
	v_mul_f16_e32 v93, 0xbb9c, v101
	;; [unrolled: 1-line block ×3, first 2 shown]
	v_fmac_f16_e32 v89, 0x3a79, v95
	v_mul_f16_e32 v95, 0x34f2, v101
	v_mul_f16_e32 v101, 0xb4f2, v122
	v_fmac_f16_e32 v114, 0x34f2, v102
	v_fmac_f16_e32 v59, 0x34f2, v102
	;; [unrolled: 1-line block ×6, first 2 shown]
	v_mul_f16_e32 v102, 0xb8b4, v106
	v_mul_f16_e32 v103, 0xba79, v106
	v_fmac_f16_e32 v94, 0x34f2, v104
	v_fmac_f16_e32 v92, 0x3a79, v99
	;; [unrolled: 1-line block ×9, first 2 shown]
	v_add_f16_e32 v99, v94, v89
	v_sub_f16_e32 v94, v94, v89
	v_add_f16_e32 v89, v114, v92
	v_add_f16_e32 v97, v115, v93
	;; [unrolled: 1-line block ×7, first 2 shown]
	v_sub_f16_e32 v110, v114, v92
	v_sub_f16_e32 v111, v115, v93
	;; [unrolled: 1-line block ×7, first 2 shown]
	v_pack_b32_f16 v93, v100, v106
	v_pack_b32_f16 v92, v97, v105
	v_pack_b32_f16 v89, v89, v99
	v_pack_b32_f16 v95, v111, v95
	v_pack_b32_f16 v94, v110, v94
	v_pack_b32_f16 v90, v104, v108
	v_pack_b32_f16 v97, v59, v101
	v_pack_b32_f16 v96, v96, v98
	ds_store_2addr_b64 v61, v[88:89], v[92:93] offset1:1
	ds_store_2addr_b64 v61, v[90:91], v[94:95] offset0:2 offset1:3
	ds_store_b64 v61, v[96:97] offset:32
	global_wb scope:SCOPE_SE
	s_wait_dscnt 0x0
	s_barrier_signal -1
	s_barrier_wait -1
	global_inv scope:SCOPE_SE
	ds_load_2addr_b32 v[88:89], v42 offset1:90
	ds_load_2addr_b32 v[90:91], v27 offset0:52 offset1:142
	ds_load_2addr_b32 v[92:93], v26 offset0:104 offset1:194
	;; [unrolled: 1-line block ×4, first 2 shown]
	global_wb scope:SCOPE_SE
	s_wait_dscnt 0x0
	s_barrier_signal -1
	s_barrier_wait -1
	global_inv scope:SCOPE_SE
	v_lshrrev_b32_e32 v61, 16, v89
	v_lshrrev_b32_e32 v98, 16, v90
	;; [unrolled: 1-line block ×9, first 2 shown]
	v_mul_f16_e32 v107, v69, v90
	v_mul_f16_e32 v109, v67, v92
	;; [unrolled: 1-line block ×9, first 2 shown]
	v_lshrrev_b32_e32 v59, 16, v88
	v_mul_f16_e32 v70, v70, v61
	v_mul_f16_e32 v69, v69, v98
	v_fma_f16 v98, v1, v98, -v107
	v_mul_f16_e32 v68, v68, v99
	v_mul_f16_e32 v67, v67, v100
	v_fma_f16 v100, v3, v100, -v109
	v_mul_f16_e32 v66, v66, v101
	v_fma_f16 v101, v4, v101, -v110
	;; [unrolled: 2-line block ×6, first 2 shown]
	v_fma_f16 v99, v2, v99, -v108
	v_fma_f16 v105, v58, v105, -v114
	v_fmac_f16_e32 v70, v0, v89
	v_fmac_f16_e32 v68, v2, v91
	v_fmac_f16_e32 v67, v3, v92
	v_fmac_f16_e32 v66, v4, v93
	v_fmac_f16_e32 v65, v5, v94
	v_fmac_f16_e32 v64, v6, v95
	v_fmac_f16_e32 v63, v7, v96
	v_fmac_f16_e32 v62, v58, v97
	v_add_f16_e32 v2, v59, v98
	v_add_f16_e32 v3, v100, v102
	v_sub_f16_e32 v4, v98, v100
	v_sub_f16_e32 v5, v104, v102
	v_add_f16_e32 v6, v98, v104
	v_sub_f16_e32 v7, v100, v98
	v_sub_f16_e32 v58, v102, v104
	v_add_f16_e32 v92, v101, v103
	v_add_f16_e32 v91, v61, v99
	;; [unrolled: 1-line block ×3, first 2 shown]
	v_fmac_f16_e32 v69, v1, v90
	v_add_f16_e32 v2, v2, v100
	v_fma_f16 v3, -0.5, v3, v59
	v_add_f16_e32 v4, v4, v5
	v_fmac_f16_e32 v59, -0.5, v6
	v_add_f16_e32 v5, v7, v58
	v_add_f16_e32 v6, v70, v68
	;; [unrolled: 1-line block ×3, first 2 shown]
	v_sub_f16_e32 v58, v68, v66
	v_add_f16_e32 v112, v68, v62
	v_sub_f16_e32 v113, v66, v68
	v_fma_f16 v92, -0.5, v92, v61
	v_sub_f16_e32 v68, v68, v62
	v_sub_f16_e32 v1, v100, v102
	;; [unrolled: 1-line block ×6, first 2 shown]
	v_add_f16_e32 v99, v67, v65
	v_sub_f16_e32 v100, v67, v65
	v_add_f16_e32 v91, v91, v101
	v_sub_f16_e32 v101, v66, v64
	v_fmac_f16_e32 v61, -0.5, v95
	v_sub_f16_e32 v0, v98, v104
	v_sub_f16_e32 v94, v105, v103
	v_add_f16_e32 v98, v88, v69
	v_add_f16_e32 v108, v69, v63
	;; [unrolled: 1-line block ×4, first 2 shown]
	v_fma_f16 v7, -0.5, v7, v70
	v_fmamk_f16 v102, v68, 0x3b9c, v92
	v_sub_f16_e32 v97, v103, v105
	v_sub_f16_e32 v106, v69, v67
	;; [unrolled: 1-line block ×4, first 2 shown]
	v_fma_f16 v95, -0.5, v99, v88
	v_fmamk_f16 v99, v100, 0xbb9c, v59
	v_fmac_f16_e32 v59, 0x3b9c, v100
	v_fmac_f16_e32 v70, -0.5, v112
	v_add_f16_e32 v91, v91, v103
	v_fmamk_f16 v103, v101, 0xbb9c, v61
	v_fmac_f16_e32 v61, 0x3b9c, v101
	v_fmac_f16_e32 v92, 0xbb9c, v68
	v_sub_f16_e32 v107, v63, v65
	v_sub_f16_e32 v111, v62, v64
	;; [unrolled: 1-line block ×3, first 2 shown]
	v_add_f16_e32 v93, v93, v94
	v_add_f16_e32 v67, v98, v67
	v_fmac_f16_e32 v88, -0.5, v108
	v_add_f16_e32 v6, v6, v64
	v_fmamk_f16 v64, v89, 0xbb9c, v7
	v_fmac_f16_e32 v102, 0x38b4, v101
	v_add_f16_e32 v94, v96, v97
	v_fmamk_f16 v98, v69, 0x3b9c, v3
	v_fmac_f16_e32 v3, 0xbb9c, v69
	v_fmac_f16_e32 v99, 0x38b4, v69
	;; [unrolled: 1-line block ×4, first 2 shown]
	v_fmamk_f16 v69, v90, 0x3b9c, v70
	v_fmac_f16_e32 v70, 0xbb9c, v90
	v_fmac_f16_e32 v103, 0x38b4, v68
	;; [unrolled: 1-line block ×4, first 2 shown]
	v_sub_f16_e32 v110, v65, v63
	v_add_f16_e32 v96, v106, v107
	v_add_f16_e32 v58, v58, v111
	;; [unrolled: 1-line block ×3, first 2 shown]
	v_fmamk_f16 v67, v0, 0xbb9c, v95
	v_fmamk_f16 v106, v1, 0x3b9c, v88
	v_fmac_f16_e32 v88, 0xbb9c, v1
	v_fmac_f16_e32 v64, 0xb8b4, v90
	;; [unrolled: 1-line block ×3, first 2 shown]
	v_add_f16_e32 v66, v113, v114
	v_fmac_f16_e32 v7, 0x38b4, v90
	v_fmac_f16_e32 v69, 0xb8b4, v89
	;; [unrolled: 1-line block ×7, first 2 shown]
	v_add_f16_e32 v2, v2, v104
	v_fmac_f16_e32 v98, 0x38b4, v100
	v_fmac_f16_e32 v3, 0xb8b4, v100
	v_add_f16_e32 v91, v91, v105
	v_add_f16_e32 v63, v65, v63
	v_fmac_f16_e32 v67, 0xb8b4, v1
	v_fmac_f16_e32 v106, 0xb8b4, v0
	v_fmac_f16_e32 v88, 0x38b4, v0
	v_fmac_f16_e32 v99, 0x34f2, v5
	v_fmac_f16_e32 v59, 0x34f2, v5
	v_add_f16_e32 v0, v6, v62
	v_fmac_f16_e32 v64, 0x34f2, v58
	v_mul_f16_e32 v5, 0xb8b4, v102
	v_mul_f16_e32 v65, 0x3a79, v102
	v_add_f16_e32 v97, v109, v110
	v_fmac_f16_e32 v7, 0x34f2, v58
	v_fmac_f16_e32 v69, 0x34f2, v66
	;; [unrolled: 1-line block ×3, first 2 shown]
	v_mul_f16_e32 v6, 0xbb9c, v103
	v_mul_f16_e32 v58, 0xbb9c, v61
	v_mul_f16_e32 v66, 0x34f2, v103
	v_mul_f16_e32 v61, 0xb4f2, v61
	v_fmac_f16_e32 v95, 0x38b4, v1
	v_mul_f16_e32 v62, 0xb8b4, v92
	v_mul_f16_e32 v68, 0xba79, v92
	v_fmac_f16_e32 v98, 0x34f2, v4
	v_fmac_f16_e32 v3, 0x34f2, v4
	v_add_f16_e32 v1, v2, v91
	v_fmac_f16_e32 v67, 0x34f2, v96
	v_add_f16_e32 v4, v63, v0
	v_fmac_f16_e32 v5, 0x3a79, v64
	v_fmac_f16_e32 v65, 0x38b4, v64
	;; [unrolled: 1-line block ×11, first 2 shown]
	v_pack_b32_f16 v1, v4, v1
	v_add_f16_e32 v4, v67, v5
	v_add_f16_e32 v69, v98, v65
	v_sub_f16_e32 v0, v63, v0
	v_add_f16_e32 v7, v106, v6
	v_add_f16_e32 v63, v88, v58
	;; [unrolled: 1-line block ×4, first 2 shown]
	v_sub_f16_e32 v2, v2, v91
	v_add_f16_e32 v64, v95, v62
	v_add_f16_e32 v90, v3, v68
	v_sub_f16_e32 v5, v67, v5
	v_sub_f16_e32 v6, v106, v6
	;; [unrolled: 1-line block ×8, first 2 shown]
	v_pack_b32_f16 v3, v4, v69
	v_pack_b32_f16 v4, v7, v70
	;; [unrolled: 1-line block ×9, first 2 shown]
	ds_store_2addr_b32 v60, v1, v3 offset1:10
	ds_store_2addr_b32 v60, v4, v7 offset0:20 offset1:30
	ds_store_2addr_b32 v60, v63, v0 offset0:40 offset1:50
	;; [unrolled: 1-line block ×4, first 2 shown]
	global_wb scope:SCOPE_SE
	s_wait_dscnt 0x0
	s_barrier_signal -1
	s_barrier_wait -1
	global_inv scope:SCOPE_SE
	ds_load_2addr_b32 v[2:3], v42 offset1:90
	ds_load_2addr_b32 v[0:1], v27 offset0:52 offset1:172
	ds_load_2addr_b32 v[6:7], v35 offset0:88 offset1:178
	ds_load_2addr_b32 v[4:5], v26 offset0:134 offset1:224
	ds_load_b32 v26, v42 offset:3120
	s_and_saveexec_b32 s0, vcc_lo
	s_cbranch_execz .LBB0_11
; %bb.10:
	ds_load_b32 v58, v42 offset:1080
	ds_load_b32 v28, v42 offset:2280
	;; [unrolled: 1-line block ×3, first 2 shown]
	s_wait_dscnt 0x2
	v_lshrrev_b32_e32 v59, 16, v58
	s_wait_dscnt 0x1
	v_lshrrev_b32_e32 v31, 16, v28
	;; [unrolled: 2-line block ×3, first 2 shown]
.LBB0_11:
	s_wait_alu 0xfffe
	s_or_b32 exec_lo, exec_lo, s0
	s_wait_dscnt 0x3
	v_lshrrev_b32_e32 v35, 16, v1
	s_wait_dscnt 0x2
	v_lshrrev_b32_e32 v60, 16, v6
	;; [unrolled: 2-line block ×3, first 2 shown]
	v_mul_f16_e32 v67, v80, v1
	v_lshrrev_b32_e32 v63, 16, v7
	v_mul_f16_e32 v65, v80, v35
	v_mul_f16_e32 v69, v77, v60
	v_lshrrev_b32_e32 v66, 16, v5
	s_wait_dscnt 0x0
	v_lshrrev_b32_e32 v68, 16, v26
	v_lshrrev_b32_e32 v27, 16, v2
	v_fmac_f16_e32 v65, v10, v1
	v_mul_f16_e32 v1, v77, v6
	v_fma_f16 v10, v10, v35, -v67
	v_mul_f16_e32 v35, v79, v62
	v_fmac_f16_e32 v69, v11, v6
	v_mul_f16_e32 v6, v79, v4
	v_fma_f16 v1, v11, v60, -v1
	v_mul_f16_e32 v11, v76, v63
	;; [unrolled: 4-line block ×6, first 2 shown]
	v_fmac_f16_e32 v18, v14, v28
	v_mul_f16_e32 v28, v81, v32
	v_fma_f16 v14, v14, v31, -v26
	v_add_f16_e32 v26, v65, v69
	v_fmac_f16_e32 v19, v15, v32
	v_add_f16_e32 v31, v2, v65
	v_fma_f16 v15, v15, v33, -v28
	v_add_f16_e32 v28, v10, v1
	v_fma_f16 v2, -0.5, v26, v2
	v_sub_f16_e32 v26, v10, v1
	v_add_f16_e32 v10, v27, v10
	v_lshrrev_b32_e32 v61, 16, v3
	v_fmac_f16_e32 v27, -0.5, v28
	v_sub_f16_e32 v28, v65, v69
	v_fmamk_f16 v32, v26, 0xbaee, v2
	v_add_f16_e32 v1, v10, v1
	v_add_f16_e32 v10, v35, v11
	v_fmac_f16_e32 v2, 0x3aee, v26
	v_fmamk_f16 v26, v28, 0x3aee, v27
	v_add_f16_e32 v33, v3, v35
	v_fmac_f16_e32 v27, 0xbaee, v28
	v_add_f16_e32 v28, v6, v4
	v_fmac_f16_e32 v3, -0.5, v10
	v_sub_f16_e32 v10, v6, v4
	v_add_f16_e32 v6, v61, v6
	v_add_f16_e32 v33, v33, v11
	v_fmac_f16_e32 v61, -0.5, v28
	v_sub_f16_e32 v11, v35, v11
	v_lshrrev_b32_e32 v64, 16, v0
	v_add_f16_e32 v4, v6, v4
	v_add_f16_e32 v6, v12, v13
	v_fmamk_f16 v28, v10, 0xbaee, v3
	v_fmac_f16_e32 v3, 0x3aee, v10
	v_fmamk_f16 v35, v11, 0x3aee, v61
	v_add_f16_e32 v10, v0, v12
	v_fmac_f16_e32 v61, 0xbaee, v11
	v_add_f16_e32 v11, v7, v5
	v_fmac_f16_e32 v0, -0.5, v6
	v_sub_f16_e32 v6, v7, v5
	v_add_f16_e32 v60, v10, v13
	v_add_f16_e32 v7, v64, v7
	v_fmac_f16_e32 v64, -0.5, v11
	v_sub_f16_e32 v10, v12, v13
	v_fmamk_f16 v62, v6, 0xbaee, v0
	v_fmac_f16_e32 v0, 0x3aee, v6
	v_add_f16_e32 v6, v18, v19
	v_add_f16_e32 v31, v31, v69
	;; [unrolled: 1-line block ×3, first 2 shown]
	v_fmamk_f16 v7, v10, 0x3aee, v64
	v_fmac_f16_e32 v64, 0xbaee, v10
	v_add_f16_e32 v10, v14, v15
	v_add_f16_e32 v11, v58, v18
	v_fmac_f16_e32 v58, -0.5, v6
	v_sub_f16_e32 v6, v14, v15
	v_add_f16_e32 v13, v59, v14
	v_fmac_f16_e32 v59, -0.5, v10
	v_sub_f16_e32 v14, v18, v19
	v_pack_b32_f16 v1, v31, v1
	v_fmamk_f16 v12, v6, 0xbaee, v58
	v_fmac_f16_e32 v58, 0x3aee, v6
	v_pack_b32_f16 v6, v32, v26
	v_add_f16_e32 v10, v11, v19
	v_add_f16_e32 v11, v13, v15
	v_fmamk_f16 v13, v14, 0x3aee, v59
	v_fmac_f16_e32 v59, 0xbaee, v14
	global_wb scope:SCOPE_SE
	s_barrier_signal -1
	s_barrier_wait -1
	global_inv scope:SCOPE_SE
	ds_store_2addr_b32 v42, v1, v6 offset1:100
	v_pack_b32_f16 v1, v2, v27
	v_pack_b32_f16 v2, v33, v4
	v_pack_b32_f16 v4, v28, v35
	v_pack_b32_f16 v3, v3, v61
	v_pack_b32_f16 v5, v60, v5
	v_pack_b32_f16 v6, v62, v7
	v_pack_b32_f16 v0, v0, v64
	ds_store_b32 v42, v1 offset:800
	ds_store_2addr_b32 v72, v2, v4 offset1:100
	ds_store_b32 v72, v3 offset:800
	ds_store_2addr_b32 v73, v5, v6 offset1:100
	ds_store_b32 v73, v0 offset:800
	s_and_saveexec_b32 s0, vcc_lo
	s_cbranch_execz .LBB0_13
; %bb.12:
	v_lshl_add_u32 v0, v71, 2, v57
	v_perm_b32 v1, v11, v10, 0x5040100
	v_perm_b32 v2, v13, v12, 0x5040100
	;; [unrolled: 1-line block ×3, first 2 shown]
	s_delay_alu instid0(VALU_DEP_4)
	v_add_nc_u32_e32 v3, 0x800, v0
	ds_store_2addr_b32 v3, v1, v2 offset0:88 offset1:188
	ds_store_b32 v0, v4 offset:3200
.LBB0_13:
	s_wait_alu 0xfffe
	s_or_b32 exec_lo, exec_lo, s0
	v_add_nc_u32_e32 v0, 0x200, v42
	v_add_nc_u32_e32 v4, 0x800, v42
	;; [unrolled: 1-line block ×3, first 2 shown]
	global_wb scope:SCOPE_SE
	s_wait_dscnt 0x0
	s_barrier_signal -1
	s_barrier_wait -1
	global_inv scope:SCOPE_SE
	ds_load_2addr_b32 v[2:3], v42 offset1:90
	ds_load_2addr_b32 v[0:1], v0 offset0:52 offset1:172
	ds_load_2addr_b32 v[6:7], v4 offset0:88 offset1:178
	;; [unrolled: 1-line block ×3, first 2 shown]
	ds_load_b32 v15, v42 offset:3120
	v_add_nc_u32_e32 v14, 0x2d0, v42
	s_and_saveexec_b32 s0, vcc_lo
	s_cbranch_execz .LBB0_15
; %bb.14:
	ds_load_b32 v10, v42 offset:1080
	ds_load_b32 v12, v42 offset:2280
	;; [unrolled: 1-line block ×3, first 2 shown]
	s_wait_dscnt 0x2
	v_lshrrev_b32_e32 v11, 16, v10
	s_wait_dscnt 0x1
	v_lshrrev_b32_e32 v13, 16, v12
	;; [unrolled: 2-line block ×3, first 2 shown]
.LBB0_15:
	s_wait_alu 0xfffe
	s_or_b32 exec_lo, exec_lo, s0
	s_wait_dscnt 0x3
	v_lshrrev_b32_e32 v19, 16, v1
	s_wait_dscnt 0x2
	v_lshrrev_b32_e32 v26, 16, v6
	;; [unrolled: 2-line block ×3, first 2 shown]
	v_mul_f16_e32 v57, v78, v1
	v_lshrrev_b32_e32 v31, 16, v7
	v_mul_f16_e32 v33, v78, v19
	v_mul_f16_e32 v61, v75, v26
	v_lshrrev_b32_e32 v35, 16, v5
	v_fma_f16 v19, v22, v19, -v57
	s_wait_dscnt 0x0
	v_lshrrev_b32_e32 v60, 16, v15
	v_fmac_f16_e32 v33, v22, v1
	v_mul_f16_e32 v1, v75, v6
	v_mul_f16_e32 v22, v87, v28
	v_fmac_f16_e32 v61, v23, v6
	v_mul_f16_e32 v6, v87, v4
	v_lshrrev_b32_e32 v18, 16, v2
	v_fma_f16 v1, v23, v26, -v1
	v_mul_f16_e32 v23, v86, v31
	v_fmac_f16_e32 v22, v24, v4
	v_mul_f16_e32 v4, v86, v7
	v_fma_f16 v6, v24, v28, -v6
	v_mul_f16_e32 v24, v85, v35
	v_fmac_f16_e32 v23, v25, v7
	v_mul_f16_e32 v7, v85, v5
	;; [unrolled: 4-line block ×3, first 2 shown]
	v_fma_f16 v7, v20, v35, -v7
	v_add_f16_e32 v20, v33, v61
	v_fmac_f16_e32 v25, v21, v15
	v_add_f16_e32 v15, v2, v33
	v_fma_f16 v5, v21, v60, -v5
	v_add_f16_e32 v21, v19, v1
	v_fma_f16 v2, -0.5, v20, v2
	v_sub_f16_e32 v20, v19, v1
	v_add_f16_e32 v19, v18, v19
	v_lshrrev_b32_e32 v27, 16, v3
	v_fmac_f16_e32 v18, -0.5, v21
	v_sub_f16_e32 v21, v33, v61
	v_fmamk_f16 v26, v20, 0xbaee, v2
	v_add_f16_e32 v1, v19, v1
	v_add_f16_e32 v19, v22, v23
	v_fmac_f16_e32 v2, 0x3aee, v20
	v_fmamk_f16 v20, v21, 0x3aee, v18
	v_fmac_f16_e32 v18, 0xbaee, v21
	v_add_f16_e32 v21, v6, v4
	v_add_f16_e32 v28, v3, v22
	v_fmac_f16_e32 v3, -0.5, v19
	v_sub_f16_e32 v19, v6, v4
	v_add_f16_e32 v6, v27, v6
	v_fmac_f16_e32 v27, -0.5, v21
	v_sub_f16_e32 v21, v22, v23
	v_lshrrev_b32_e32 v32, 16, v0
	v_fmamk_f16 v22, v19, 0xbaee, v3
	v_add_f16_e32 v4, v6, v4
	v_add_f16_e32 v6, v24, v25
	v_fmac_f16_e32 v3, 0x3aee, v19
	v_fmamk_f16 v19, v21, 0x3aee, v27
	v_fmac_f16_e32 v27, 0xbaee, v21
	v_add_f16_e32 v21, v7, v5
	v_add_f16_e32 v15, v15, v61
	;; [unrolled: 1-line block ×4, first 2 shown]
	v_fmac_f16_e32 v0, -0.5, v6
	v_sub_f16_e32 v6, v7, v5
	v_add_f16_e32 v7, v32, v7
	v_fmac_f16_e32 v32, -0.5, v21
	v_sub_f16_e32 v21, v24, v25
	v_pack_b32_f16 v1, v15, v1
	v_add_f16_e32 v23, v23, v25
	v_add_f16_e32 v5, v7, v5
	v_pack_b32_f16 v7, v26, v20
	v_pack_b32_f16 v2, v2, v18
	v_fmamk_f16 v24, v6, 0xbaee, v0
	v_fmac_f16_e32 v0, 0x3aee, v6
	v_fmamk_f16 v6, v21, 0x3aee, v32
	v_pack_b32_f16 v4, v28, v4
	v_fmac_f16_e32 v32, 0xbaee, v21
	ds_store_b32 v42, v1
	ds_store_b32 v74, v7 offset:1200
	ds_store_b32 v74, v2 offset:2400
	;; [unrolled: 1-line block ×3, first 2 shown]
	v_pack_b32_f16 v1, v22, v19
	v_pack_b32_f16 v2, v3, v27
	;; [unrolled: 1-line block ×5, first 2 shown]
	ds_store_b32 v74, v1 offset:1560
	ds_store_b32 v74, v2 offset:2760
	;; [unrolled: 1-line block ×5, first 2 shown]
	s_and_saveexec_b32 s0, vcc_lo
	s_cbranch_execz .LBB0_17
; %bb.16:
	v_mul_f16_e32 v0, v30, v12
	v_mul_f16_e32 v1, v29, v58
	;; [unrolled: 1-line block ×4, first 2 shown]
	s_delay_alu instid0(VALU_DEP_4) | instskip(NEXT) | instid1(VALU_DEP_4)
	v_fma_f16 v0, v16, v13, -v0
	v_fma_f16 v1, v17, v59, -v1
	s_delay_alu instid0(VALU_DEP_4) | instskip(NEXT) | instid1(VALU_DEP_4)
	v_fmac_f16_e32 v2, v16, v12
	v_fmac_f16_e32 v3, v17, v58
	s_delay_alu instid0(VALU_DEP_4) | instskip(NEXT) | instid1(VALU_DEP_4)
	v_add_f16_e32 v7, v11, v0
	v_add_f16_e32 v4, v0, v1
	v_sub_f16_e32 v0, v0, v1
	s_delay_alu instid0(VALU_DEP_4)
	v_add_f16_e32 v6, v2, v3
	v_sub_f16_e32 v5, v2, v3
	v_add_f16_e32 v2, v10, v2
	v_fma_f16 v4, -0.5, v4, v11
	v_add_f16_e32 v1, v7, v1
	v_fma_f16 v6, -0.5, v6, v10
	s_delay_alu instid0(VALU_DEP_4) | instskip(NEXT) | instid1(VALU_DEP_4)
	v_add_f16_e32 v2, v2, v3
	v_fmamk_f16 v3, v5, 0xbaee, v4
	v_fmac_f16_e32 v4, 0x3aee, v5
	s_delay_alu instid0(VALU_DEP_4) | instskip(SKIP_2) | instid1(VALU_DEP_3)
	v_fmamk_f16 v5, v0, 0x3aee, v6
	v_fmac_f16_e32 v6, 0xbaee, v0
	v_pack_b32_f16 v0, v2, v1
	v_pack_b32_f16 v2, v5, v3
	s_delay_alu instid0(VALU_DEP_3)
	v_pack_b32_f16 v1, v6, v4
	ds_store_b32 v42, v0 offset:1080
	ds_store_b32 v74, v1 offset:2280
	;; [unrolled: 1-line block ×3, first 2 shown]
.LBB0_17:
	s_wait_alu 0xfffe
	s_or_b32 exec_lo, exec_lo, s0
	global_wb scope:SCOPE_SE
	s_wait_dscnt 0x0
	s_barrier_signal -1
	s_barrier_wait -1
	global_inv scope:SCOPE_SE
	ds_load_2addr_b32 v[0:1], v42 offset1:90
	v_mad_co_u64_u32 v[18:19], null, s8, v9, 0
	v_add_nc_u32_e32 v4, 0x200, v42
	s_mov_b32 s6, 0x789abcdf
	s_mov_b32 s7, 0x3f523456
	v_mad_co_u64_u32 v[16:17], null, s10, v8, 0
	s_wait_dscnt 0x0
	v_lshrrev_b32_e32 v2, 16, v0
	v_mul_f16_e32 v3, v56, v0
	v_lshrrev_b32_e32 v5, 16, v1
	v_mul_f16_e32 v6, v55, v1
	s_delay_alu instid0(VALU_DEP_4) | instskip(NEXT) | instid1(VALU_DEP_4)
	v_mul_f16_e32 v10, v56, v2
	v_fma_f16 v7, v51, v2, -v3
	ds_load_2addr_b32 v[2:3], v4 offset0:52 offset1:142
	v_fma_f16 v4, v52, v5, -v6
	v_mul_f16_e32 v11, v55, v5
	v_fmac_f16_e32 v10, v51, v0
	v_cvt_f32_f16_e32 v6, v7
	s_delay_alu instid0(VALU_DEP_4) | instskip(NEXT) | instid1(VALU_DEP_4)
	v_cvt_f32_f16_e32 v0, v4
	v_fmac_f16_e32 v11, v52, v1
	s_delay_alu instid0(VALU_DEP_4) | instskip(NEXT) | instid1(VALU_DEP_4)
	v_cvt_f32_f16_e32 v10, v10
	v_cvt_f64_f32_e32 v[4:5], v6
	s_delay_alu instid0(VALU_DEP_4) | instskip(NEXT) | instid1(VALU_DEP_3)
	v_cvt_f64_f32_e32 v[6:7], v0
	v_cvt_f64_f32_e32 v[0:1], v10
	v_cvt_f32_f16_e32 v10, v11
	s_delay_alu instid0(VALU_DEP_1) | instskip(SKIP_4) | instid1(VALU_DEP_3)
	v_cvt_f64_f32_e32 v[10:11], v10
	s_wait_dscnt 0x0
	v_lshrrev_b32_e32 v12, 16, v2
	v_mul_f16_e32 v14, v54, v2
	v_lshrrev_b32_e32 v21, 16, v3
	v_mul_f16_e32 v13, v54, v12
	s_delay_alu instid0(VALU_DEP_1) | instskip(NEXT) | instid1(VALU_DEP_4)
	v_fmac_f16_e32 v13, v49, v2
	v_fma_f16 v2, v49, v12, -v14
	s_delay_alu instid0(VALU_DEP_2) | instskip(NEXT) | instid1(VALU_DEP_2)
	v_cvt_f32_f16_e32 v12, v13
	v_cvt_f32_f16_e32 v2, v2
	s_delay_alu instid0(VALU_DEP_2) | instskip(NEXT) | instid1(VALU_DEP_2)
	v_cvt_f64_f32_e32 v[12:13], v12
	v_cvt_f64_f32_e32 v[14:15], v2
	v_dual_mov_b32 v2, v17 :: v_dual_mov_b32 v17, v19
	s_wait_alu 0xfffe
	v_mul_f64_e32 v[4:5], s[6:7], v[4:5]
	s_delay_alu instid0(VALU_DEP_2)
	v_mad_co_u64_u32 v[19:20], null, s11, v8, v[2:3]
	v_mul_f64_e32 v[6:7], s[6:7], v[6:7]
	v_mul_f64_e32 v[0:1], s[6:7], v[0:1]
	v_mad_co_u64_u32 v[8:9], null, s9, v9, v[17:18]
	v_mul_f16_e32 v2, v53, v21
	v_mov_b32_e32 v17, v19
	v_mul_f64_e32 v[10:11], s[6:7], v[10:11]
	s_delay_alu instid0(VALU_DEP_3) | instskip(SKIP_1) | instid1(VALU_DEP_2)
	v_fmac_f16_e32 v2, v47, v3
	v_mul_f16_e32 v3, v53, v3
	v_cvt_f32_f16_e32 v2, v2
	s_delay_alu instid0(VALU_DEP_2)
	v_fma_f16 v3, v47, v21, -v3
	v_mul_f64_e32 v[14:15], s[6:7], v[14:15]
	v_and_or_b32 v4, 0x1ff, v5, v4
	v_bfe_u32 v22, v7, 20, 11
	v_mov_b32_e32 v19, v8
	v_mul_f64_e32 v[8:9], s[6:7], v[12:13]
	v_and_or_b32 v6, 0x1ff, v7, v6
	v_cmp_ne_u32_e32 vcc_lo, 0, v4
	v_and_or_b32 v0, 0x1ff, v1, v0
	v_lshlrev_b64_e32 v[12:13], 2, v[16:17]
	v_lshrrev_b32_e32 v16, 8, v5
	v_and_or_b32 v10, 0x1ff, v11, v10
	s_wait_alu 0xfffd
	v_cndmask_b32_e64 v4, 0, 1, vcc_lo
	v_cmp_ne_u32_e32 vcc_lo, 0, v6
	v_bfe_u32 v17, v5, 20, 11
	v_lshrrev_b32_e32 v20, 8, v7
	v_bfe_u32 v24, v1, 20, 11
	v_and_or_b32 v4, 0xffe, v16, v4
	s_wait_alu 0xfffd
	v_cndmask_b32_e64 v6, 0, 1, vcc_lo
	v_cmp_ne_u32_e32 vcc_lo, 0, v0
	v_lshrrev_b32_e32 v23, 8, v1
	v_sub_nc_u32_e32 v25, 0x3f1, v17
	v_add_nc_u32_e32 v17, 0xfffffc10, v17
	v_sub_nc_u32_e32 v29, 0x3f1, v24
	s_wait_alu 0xfffd
	v_cndmask_b32_e64 v0, 0, 1, vcc_lo
	v_cmp_ne_u32_e32 vcc_lo, 0, v10
	v_and_or_b32 v6, 0xffe, v20, v6
	v_lshrrev_b32_e32 v26, 8, v11
	v_sub_nc_u32_e32 v28, 0x3f1, v22
	v_add_nc_u32_e32 v22, 0xfffffc10, v22
	s_wait_alu 0xfffd
	v_cndmask_b32_e64 v10, 0, 1, vcc_lo
	v_cmp_ne_u32_e32 vcc_lo, 0, v4
	v_and_or_b32 v0, 0xffe, v23, v0
	v_med3_i32 v23, v29, 0, 13
	v_or_b32_e32 v29, 0x1000, v4
	v_lshl_or_b32 v31, v17, 12, v4
	s_wait_alu 0xfffd
	v_cndmask_b32_e64 v4, 0, 1, vcc_lo
	v_cmp_ne_u32_e32 vcc_lo, 0, v6
	v_med3_i32 v16, v25, 0, 13
	v_and_or_b32 v10, 0xffe, v26, v10
	v_or_b32_e32 v26, 0x1000, v6
	v_lshl_or_b32 v32, v22, 12, v6
	s_wait_alu 0xfffd
	v_cndmask_b32_e64 v6, 0, 1, vcc_lo
	v_and_or_b32 v8, 0x1ff, v9, v8
	v_bfe_u32 v27, v11, 20, 11
	v_add_nc_u32_e32 v24, 0xfffffc10, v24
	v_med3_i32 v20, v28, 0, 13
	v_lshrrev_b32_e32 v49, v16, v29
	v_cmp_ne_u32_e32 vcc_lo, 0, v8
	v_sub_nc_u32_e32 v25, 0x3f1, v27
	v_add_nc_u32_e32 v27, 0xfffffc10, v27
	v_lshrrev_b32_e32 v28, 8, v9
	v_or_b32_e32 v34, 0x1000, v0
	s_wait_alu 0xfffd
	v_cndmask_b32_e64 v8, 0, 1, vcc_lo
	v_cmp_ne_u32_e32 vcc_lo, 0, v0
	v_lshl_or_b32 v35, v24, 12, v0
	v_lshrrev_b32_e32 v54, v20, v26
	v_lshlrev_b32_e32 v16, v16, v49
	v_med3_i32 v25, v25, 0, 13
	s_wait_alu 0xfffd
	v_cndmask_b32_e64 v0, 0, 1, vcc_lo
	v_cmp_ne_u32_e32 vcc_lo, 0, v10
	v_or_b32_e32 v51, 0x1000, v10
	v_lshl_or_b32 v52, v27, 12, v10
	v_and_or_b32 v8, 0xffe, v28, v8
	v_lshrrev_b32_e32 v28, v23, v34
	s_wait_alu 0xfffd
	v_cndmask_b32_e64 v10, 0, 1, vcc_lo
	v_lshlrev_b32_e32 v20, v20, v54
	v_cmp_ne_u32_e32 vcc_lo, v16, v29
	v_lshrrev_b32_e32 v55, v25, v51
	v_lshl_or_b32 v4, v4, 9, 0x7c00
	v_lshl_or_b32 v10, v10, 9, 0x7c00
	v_lshlrev_b32_e32 v23, v23, v28
	s_wait_alu 0xfffd
	v_cndmask_b32_e64 v16, 0, 1, vcc_lo
	v_cmp_ne_u32_e32 vcc_lo, v20, v26
	v_lshlrev_b32_e32 v25, v25, v55
	v_lshl_or_b32 v0, v0, 9, 0x7c00
	v_lshrrev_b32_e32 v1, 16, v1
	v_or_b32_e32 v16, v49, v16
	s_wait_alu 0xfffd
	v_cndmask_b32_e64 v20, 0, 1, vcc_lo
	v_cmp_ne_u32_e32 vcc_lo, v23, v34
	v_lshrrev_b32_e32 v5, 16, v5
	v_bfe_u32 v30, v9, 20, 11
	v_lshrrev_b32_e32 v11, 16, v11
	v_or_b32_e32 v20, v54, v20
	s_wait_alu 0xfffd
	v_cndmask_b32_e64 v23, 0, 1, vcc_lo
	v_cmp_ne_u32_e32 vcc_lo, v25, v51
	v_sub_nc_u32_e32 v33, 0x3f1, v30
	v_lshrrev_b32_e32 v7, 16, v7
	s_delay_alu instid0(VALU_DEP_4) | instskip(SKIP_3) | instid1(VALU_DEP_2)
	v_or_b32_e32 v23, v28, v23
	s_wait_alu 0xfffd
	v_cndmask_b32_e64 v25, 0, 1, vcc_lo
	v_cmp_gt_i32_e32 vcc_lo, 1, v17
	v_or_b32_e32 v25, v55, v25
	s_wait_alu 0xfffd
	v_cndmask_b32_e32 v16, v31, v16, vcc_lo
	v_cmp_gt_i32_e32 vcc_lo, 1, v22
	s_wait_alu 0xfffd
	v_cndmask_b32_e32 v20, v32, v20, vcc_lo
	v_cmp_gt_i32_e32 vcc_lo, 1, v24
	s_wait_alu 0xfffd
	s_delay_alu instid0(VALU_DEP_2) | instskip(SKIP_3) | instid1(VALU_DEP_4)
	v_dual_cndmask_b32 v23, v35, v23 :: v_dual_and_b32 v28, 7, v20
	v_cmp_gt_i32_e32 vcc_lo, 1, v27
	v_and_b32_e32 v26, 7, v16
	v_lshrrev_b32_e32 v16, 2, v16
	v_cmp_lt_i32_e64 s3, 5, v28
	v_and_b32_e32 v29, 7, v23
	s_wait_alu 0xfffd
	v_cndmask_b32_e32 v25, v52, v25, vcc_lo
	v_lshrrev_b32_e32 v23, 2, v23
	v_cmp_lt_i32_e32 vcc_lo, 5, v26
	v_cmp_eq_u32_e64 s0, 3, v26
	v_cmp_lt_i32_e64 s1, 5, v29
	v_cmp_eq_u32_e64 s2, 3, v29
	v_and_b32_e32 v26, 7, v25
	v_lshrrev_b32_e32 v25, 2, v25
	s_or_b32 vcc_lo, s0, vcc_lo
	v_cmp_gt_i32_e64 s0, 31, v24
	s_or_b32 s1, s2, s1
	s_wait_alu 0xfffe
	v_add_co_ci_u32_e32 v16, vcc_lo, 0, v16, vcc_lo
	v_add_co_ci_u32_e64 v23, s1, 0, v23, s1
	v_cmp_gt_i32_e64 s1, 31, v17
	v_cmp_lt_i32_e32 vcc_lo, 5, v26
	v_cmp_eq_u32_e64 s4, 3, v28
	s_delay_alu instid0(VALU_DEP_4)
	v_cndmask_b32_e64 v23, 0x7c00, v23, s0
	v_cmp_eq_u32_e64 s0, 3, v26
	s_wait_alu 0xf1ff
	v_cndmask_b32_e64 v16, 0x7c00, v16, s1
	v_cmp_eq_u32_e64 s1, 0x40f, v24
	v_lshrrev_b32_e32 v20, 2, v20
	s_or_b32 vcc_lo, s0, vcc_lo
	s_delay_alu instid0(VALU_DEP_2) | instskip(SKIP_3) | instid1(VALU_DEP_3)
	v_cndmask_b32_e64 v0, v23, v0, s1
	s_wait_alu 0xfffe
	v_add_co_ci_u32_e32 v23, vcc_lo, 0, v25, vcc_lo
	v_cmp_eq_u32_e32 vcc_lo, 0x40f, v17
	v_and_or_b32 v0, 0x8000, v1, v0
	s_wait_alu 0xfffd
	v_cndmask_b32_e32 v4, v16, v4, vcc_lo
	s_or_b32 vcc_lo, s4, s3
	s_delay_alu instid0(VALU_DEP_2)
	v_and_b32_e32 v0, 0xffff, v0
	s_wait_alu 0xfffe
	v_add_co_ci_u32_e32 v1, vcc_lo, 0, v20, vcc_lo
	v_cmp_gt_i32_e32 vcc_lo, 31, v27
	v_and_or_b32 v4, 0x8000, v5, v4
	s_mul_u64 s[2:3], s[8:9], 0x168
	s_wait_alu 0xfffd
	v_cndmask_b32_e32 v16, 0x7c00, v23, vcc_lo
	v_cmp_gt_i32_e32 vcc_lo, 31, v22
	s_wait_alu 0xfffd
	v_cndmask_b32_e32 v5, 0x7c00, v1, vcc_lo
	v_cmp_eq_u32_e32 vcc_lo, 0x40f, v27
	s_wait_alu 0xfffd
	v_cndmask_b32_e32 v10, v16, v10, vcc_lo
	v_lshl_or_b32 v16, v4, 16, v0
	v_cvt_f64_f32_e32 v[0:1], v2
	v_lshl_or_b32 v2, v6, 9, 0x7c00
	v_or_b32_e32 v6, 0x1000, v8
	v_med3_i32 v4, v33, 0, 13
	v_cmp_eq_u32_e32 vcc_lo, 0x40f, v22
	v_and_or_b32 v10, 0x8000, v11, v10
	s_delay_alu instid0(VALU_DEP_3)
	v_lshrrev_b32_e32 v17, v4, v6
	s_wait_alu 0xfffd
	v_cndmask_b32_e32 v2, v5, v2, vcc_lo
	v_add_co_u32 v12, vcc_lo, s12, v12
	s_wait_alu 0xfffd
	v_add_co_ci_u32_e32 v13, vcc_lo, s13, v13, vcc_lo
	v_lshlrev_b32_e32 v20, v4, v17
	v_and_or_b32 v11, 0x8000, v7, v2
	v_and_or_b32 v2, 0x1ff, v15, v14
	v_add_nc_u32_e32 v14, 0xfffffc10, v30
	v_lshrrev_b32_e32 v7, 8, v15
	v_cmp_ne_u32_e32 vcc_lo, v20, v6
	v_lshlrev_b64_e32 v[4:5], 2, v[18:19]
	v_bfe_u32 v18, v15, 20, 11
	v_and_b32_e32 v10, 0xffff, v10
	s_wait_alu 0xfffd
	v_cndmask_b32_e64 v6, 0, 1, vcc_lo
	v_cmp_ne_u32_e32 vcc_lo, 0, v2
	s_delay_alu instid0(VALU_DEP_2) | instskip(SKIP_4) | instid1(VALU_DEP_3)
	v_or_b32_e32 v6, v17, v6
	s_wait_alu 0xfffd
	v_cndmask_b32_e64 v2, 0, 1, vcc_lo
	v_lshl_or_b32 v17, v14, 12, v8
	v_cmp_gt_i32_e32 vcc_lo, 1, v14
	v_and_or_b32 v19, 0xffe, v7, v2
	v_cvt_f32_f16_e32 v2, v3
	v_sub_nc_u32_e32 v7, 0x3f1, v18
	s_wait_alu 0xfffd
	v_cndmask_b32_e32 v17, v17, v6, vcc_lo
	v_mul_f64_e32 v[0:1], s[6:7], v[0:1]
	v_or_b32_e32 v20, 0x1000, v19
	v_cvt_f64_f32_e32 v[2:3], v2
	v_med3_i32 v21, v7, 0, 13
	v_and_b32_e32 v22, 7, v17
	v_add_co_u32 v4, vcc_lo, v12, v4
	v_add_nc_u32_e32 v6, 0x400, v42
	s_delay_alu instid0(VALU_DEP_4)
	v_lshrrev_b32_e32 v23, v21, v20
	s_wait_alu 0xfffd
	v_add_co_ci_u32_e32 v5, vcc_lo, v13, v5, vcc_lo
	v_cmp_lt_i32_e32 vcc_lo, 5, v22
	v_cmp_eq_u32_e64 s0, 3, v22
	v_lshlrev_b32_e32 v12, v21, v23
	v_lshl_or_b32 v21, v11, 16, v10
	v_lshrrev_b32_e32 v10, 2, v17
	ds_load_2addr_b32 v[6:7], v6 offset0:104 offset1:194
	s_or_b32 vcc_lo, s0, vcc_lo
	v_cmp_ne_u32_e64 s1, v12, v20
	v_add_nc_u32_e32 v12, 0xfffffc10, v18
	s_wait_alu 0xfffe
	v_add_co_ci_u32_e32 v10, vcc_lo, 0, v10, vcc_lo
	v_cmp_ne_u32_e32 vcc_lo, 0, v8
	s_wait_alu 0xf1ff
	v_cndmask_b32_e64 v11, 0, 1, s1
	v_lshl_or_b32 v13, v12, 12, v19
	v_lshrrev_b32_e32 v18, 16, v9
	s_wait_alu 0xfffd
	v_cndmask_b32_e64 v8, 0, 1, vcc_lo
	v_cmp_gt_i32_e32 vcc_lo, 31, v14
	v_or_b32_e32 v11, v23, v11
	s_delay_alu instid0(VALU_DEP_3)
	v_lshl_or_b32 v8, v8, 9, 0x7c00
	s_wait_alu 0xfffd
	v_cndmask_b32_e32 v10, 0x7c00, v10, vcc_lo
	v_cmp_gt_i32_e32 vcc_lo, 1, v12
	s_wait_dscnt 0x0
	v_lshrrev_b32_e32 v17, 16, v6
	v_and_or_b32 v0, 0x1ff, v1, v0
	s_wait_alu 0xfffd
	v_cndmask_b32_e32 v11, v13, v11, vcc_lo
	v_cmp_eq_u32_e32 vcc_lo, 0x40f, v14
	v_mul_f16_e32 v13, v50, v17
	v_mul_f64_e32 v[2:3], s[6:7], v[2:3]
	v_cmp_ne_u32_e64 s1, 0, v0
	v_bfe_u32 v20, v1, 20, 11
	s_wait_alu 0xfffd
	v_cndmask_b32_e32 v14, v10, v8, vcc_lo
	v_and_b32_e32 v8, 7, v11
	v_fmac_f16_e32 v13, v45, v6
	v_lshrrev_b32_e32 v10, 2, v11
	s_wait_alu 0xf1ff
	v_cndmask_b32_e64 v0, 0, 1, s1
	v_lshrrev_b32_e32 v11, 8, v1
	v_cmp_lt_i32_e32 vcc_lo, 5, v8
	v_cmp_eq_u32_e64 s0, 3, v8
	v_cvt_f32_f16_e32 v8, v13
	v_mul_f16_e32 v6, v50, v6
	v_and_or_b32 v0, 0xffe, v11, v0
	v_sub_nc_u32_e32 v11, 0x3f1, v20
	s_or_b32 vcc_lo, s0, vcc_lo
	v_cvt_f64_f32_e32 v[8:9], v8
	s_wait_alu 0xfffe
	v_add_co_ci_u32_e32 v10, vcc_lo, 0, v10, vcc_lo
	v_cmp_ne_u32_e32 vcc_lo, 0, v19
	v_or_b32_e32 v19, 0x1000, v0
	v_med3_i32 v22, v11, 0, 13
	v_fma_f16 v6, v45, v17, -v6
	v_and_or_b32 v14, 0x8000, v18, v14
	s_wait_alu 0xfffd
	v_cndmask_b32_e64 v13, 0, 1, vcc_lo
	v_cmp_gt_i32_e32 vcc_lo, 31, v12
	v_cvt_f32_f16_e32 v6, v6
	v_and_b32_e32 v14, 0xffff, v14
	s_delay_alu instid0(VALU_DEP_4) | instskip(SKIP_4) | instid1(VALU_DEP_2)
	v_lshl_or_b32 v13, v13, 9, 0x7c00
	s_wait_alu 0xfffd
	v_cndmask_b32_e32 v10, 0x7c00, v10, vcc_lo
	v_cmp_eq_u32_e32 vcc_lo, 0x40f, v12
	s_wait_alu 0xfffd
	v_cndmask_b32_e32 v12, v10, v13, vcc_lo
	v_lshrrev_b32_e32 v13, 16, v15
	v_lshrrev_b32_e32 v15, v22, v19
	v_add_co_u32 v10, vcc_lo, v4, s2
	s_wait_alu 0xfffd
	v_add_co_ci_u32_e32 v11, vcc_lo, s3, v5, vcc_lo
	s_delay_alu instid0(VALU_DEP_3)
	v_lshlrev_b32_e32 v17, v22, v15
	v_and_or_b32 v2, 0x1ff, v3, v2
	s_clause 0x1
	global_store_b32 v[4:5], v16, off
	global_store_b32 v[10:11], v21, off
	v_lshrrev_b32_e32 v21, 16, v1
	v_cmp_ne_u32_e32 vcc_lo, v17, v19
	v_add_nc_u32_e32 v17, 0xfffffc10, v20
	v_and_or_b32 v18, 0x8000, v13, v12
	v_cvt_f64_f32_e32 v[12:13], v6
	v_lshrrev_b32_e32 v19, 8, v3
	s_wait_alu 0xfffd
	v_cndmask_b32_e64 v6, 0, 1, vcc_lo
	v_cmp_ne_u32_e32 vcc_lo, 0, v2
	v_bfe_u32 v20, v3, 20, 11
	v_mul_f64_e32 v[8:9], s[6:7], v[8:9]
	v_lshl_or_b32 v14, v18, 16, v14
	v_or_b32_e32 v6, v15, v6
	s_wait_alu 0xfffd
	v_cndmask_b32_e64 v2, 0, 1, vcc_lo
	v_lshl_or_b32 v15, v17, 12, v0
	v_cmp_gt_i32_e32 vcc_lo, 1, v17
	s_delay_alu instid0(VALU_DEP_3)
	v_and_or_b32 v2, 0xffe, v19, v2
	v_sub_nc_u32_e32 v19, 0x3f1, v20
	s_wait_alu 0xfffd
	v_cndmask_b32_e32 v6, v15, v6, vcc_lo
	v_add_co_u32 v4, vcc_lo, v10, s2
	v_or_b32_e32 v15, 0x1000, v2
	v_med3_i32 v19, v19, 0, 13
	s_wait_alu 0xfffd
	v_add_co_ci_u32_e32 v5, vcc_lo, s3, v11, vcc_lo
	s_delay_alu instid0(VALU_DEP_2)
	v_lshrrev_b32_e32 v18, v19, v15
	global_store_b32 v[4:5], v14, off
	v_lshlrev_b32_e32 v10, v19, v18
	v_add_nc_u32_e32 v19, 0xfffffc10, v20
	v_and_b32_e32 v16, 7, v6
	v_lshrrev_b32_e32 v6, 2, v6
	s_delay_alu instid0(VALU_DEP_4) | instskip(NEXT) | instid1(VALU_DEP_3)
	v_cmp_ne_u32_e64 s1, v10, v15
	v_cmp_lt_i32_e32 vcc_lo, 5, v16
	v_cmp_eq_u32_e64 s0, 3, v16
	v_lshrrev_b32_e32 v16, 16, v7
	s_wait_alu 0xf1ff
	v_cndmask_b32_e64 v15, 0, 1, s1
	v_mul_f64_e32 v[10:11], s[6:7], v[12:13]
	v_lshl_or_b32 v13, v19, 12, v2
	s_or_b32 vcc_lo, s0, vcc_lo
	v_mul_f16_e32 v20, v48, v16
	s_wait_alu 0xfffe
	v_add_co_ci_u32_e32 v6, vcc_lo, 0, v6, vcc_lo
	v_cmp_ne_u32_e32 vcc_lo, 0, v0
	v_or_b32_e32 v12, v18, v15
	v_fmac_f16_e32 v20, v43, v7
	v_and_or_b32 v8, 0x1ff, v9, v8
	s_wait_alu 0xfffd
	v_cndmask_b32_e64 v0, 0, 1, vcc_lo
	v_cmp_gt_i32_e32 vcc_lo, 1, v19
	s_delay_alu instid0(VALU_DEP_2)
	v_lshl_or_b32 v0, v0, 9, 0x7c00
	s_wait_alu 0xfffd
	v_cndmask_b32_e32 v15, v13, v12, vcc_lo
	v_cmp_gt_i32_e32 vcc_lo, 31, v17
	v_cvt_f32_f16_e32 v12, v20
	v_lshrrev_b32_e32 v20, 8, v9
	s_delay_alu instid0(VALU_DEP_4)
	v_and_b32_e32 v18, 7, v15
	s_wait_alu 0xfffd
	v_cndmask_b32_e32 v6, 0x7c00, v6, vcc_lo
	v_cmp_ne_u32_e32 vcc_lo, 0, v8
	v_cvt_f64_f32_e32 v[12:13], v12
	v_cmp_eq_u32_e64 s0, 3, v18
	s_wait_alu 0xfffd
	v_cndmask_b32_e64 v8, 0, 1, vcc_lo
	v_cmp_eq_u32_e32 vcc_lo, 0x40f, v17
	s_delay_alu instid0(VALU_DEP_2)
	v_and_or_b32 v8, 0xffe, v20, v8
	s_wait_alu 0xfffd
	v_cndmask_b32_e32 v17, v6, v0, vcc_lo
	v_bfe_u32 v6, v9, 20, 11
	v_cmp_lt_i32_e32 vcc_lo, 5, v18
	v_mul_f16_e32 v0, v48, v7
	v_lshrrev_b32_e32 v7, 2, v15
	v_or_b32_e32 v15, 0x1000, v8
	v_sub_nc_u32_e32 v1, 0x3f1, v6
	s_or_b32 vcc_lo, s0, vcc_lo
	v_fma_f16 v0, v43, v16, -v0
	s_wait_alu 0xfffe
	v_add_co_ci_u32_e32 v7, vcc_lo, 0, v7, vcc_lo
	v_med3_i32 v16, v1, 0, 13
	v_cmp_ne_u32_e32 vcc_lo, 0, v2
	v_and_or_b32 v10, 0x1ff, v11, v10
	v_cvt_f32_f16_e32 v0, v0
	v_bfe_u32 v23, v11, 20, 11
	v_lshrrev_b32_e32 v18, v16, v15
	s_wait_alu 0xfffd
	v_cndmask_b32_e64 v2, 0, 1, vcc_lo
	v_cmp_gt_i32_e32 vcc_lo, 31, v19
	v_cvt_f64_f32_e32 v[0:1], v0
	v_add_nc_u32_e32 v22, 0xfffffc10, v6
	v_and_or_b32 v17, 0x8000, v21, v17
	v_lshl_or_b32 v2, v2, 9, 0x7c00
	s_wait_alu 0xfffd
	v_dual_cndmask_b32 v20, 0x7c00, v7 :: v_dual_lshlrev_b32 v7, v16, v18
	v_cmp_ne_u32_e32 vcc_lo, 0, v10
	v_lshrrev_b32_e32 v16, 8, v11
	v_lshrrev_b32_e32 v9, 16, v9
	v_lshrrev_b32_e32 v11, 16, v11
	s_wait_alu 0xfffd
	v_cndmask_b32_e64 v10, 0, 1, vcc_lo
	v_cmp_ne_u32_e32 vcc_lo, v7, v15
	v_mul_f64_e32 v[6:7], s[6:7], v[12:13]
	s_delay_alu instid0(VALU_DEP_3) | instskip(SKIP_3) | instid1(VALU_DEP_3)
	v_and_or_b32 v10, 0xffe, v16, v10
	s_wait_alu 0xfffd
	v_cndmask_b32_e64 v15, 0, 1, vcc_lo
	v_cmp_eq_u32_e32 vcc_lo, 0x40f, v19
	v_or_b32_e32 v16, 0x1000, v10
	s_delay_alu instid0(VALU_DEP_3)
	v_or_b32_e32 v13, v18, v15
	s_wait_alu 0xfffd
	v_cndmask_b32_e32 v12, v20, v2, vcc_lo
	v_sub_nc_u32_e32 v2, 0x3f1, v23
	v_lshl_or_b32 v15, v22, 12, v8
	v_cmp_gt_i32_e32 vcc_lo, 1, v22
	v_add_nc_u32_e32 v18, 0x800, v42
	s_delay_alu instid0(VALU_DEP_4)
	v_med3_i32 v19, v2, 0, 13
	s_wait_alu 0xfffd
	v_cndmask_b32_e32 v13, v15, v13, vcc_lo
	v_lshrrev_b32_e32 v15, 16, v3
	ds_load_2addr_b32 v[2:3], v18 offset0:28 offset1:118
	v_lshrrev_b32_e32 v18, v19, v16
	v_and_b32_e32 v20, 7, v13
	v_and_or_b32 v14, 0x8000, v15, v12
	v_lshrrev_b32_e32 v13, 2, v13
	s_delay_alu instid0(VALU_DEP_4)
	v_lshlrev_b32_e32 v12, v19, v18
	v_mul_f64_e32 v[0:1], s[6:7], v[0:1]
	v_cmp_lt_i32_e32 vcc_lo, 5, v20
	v_cmp_eq_u32_e64 s0, 3, v20
	v_and_b32_e32 v15, 0xffff, v17
	v_cmp_ne_u32_e64 s1, v12, v16
	v_add_nc_u32_e32 v16, 0xfffffc10, v23
	s_delay_alu instid0(VALU_DEP_4) | instskip(NEXT) | instid1(VALU_DEP_3)
	s_or_b32 vcc_lo, s0, vcc_lo
	v_lshl_or_b32 v14, v14, 16, v15
	s_wait_alu 0xfffe
	v_add_co_ci_u32_e32 v13, vcc_lo, 0, v13, vcc_lo
	v_cndmask_b32_e64 v12, 0, 1, s1
	v_cmp_ne_u32_e32 vcc_lo, 0, v8
	v_lshl_or_b32 v17, v16, 12, v10
	v_and_or_b32 v6, 0x1ff, v7, v6
	v_lshrrev_b32_e32 v20, 8, v7
	v_or_b32_e32 v12, v18, v12
	s_wait_dscnt 0x0
	v_lshrrev_b32_e32 v18, 16, v2
	s_wait_alu 0xfffd
	v_cndmask_b32_e64 v8, 0, 1, vcc_lo
	v_cmp_gt_i32_e32 vcc_lo, 1, v16
	v_bfe_u32 v21, v7, 20, 11
	s_delay_alu instid0(VALU_DEP_3) | instskip(SKIP_4) | instid1(VALU_DEP_3)
	v_lshl_or_b32 v8, v8, 9, 0x7c00
	s_wait_alu 0xfffd
	v_cndmask_b32_e32 v17, v17, v12, vcc_lo
	v_mul_f16_e32 v12, v46, v18
	v_cmp_gt_i32_e32 vcc_lo, 31, v22
	v_and_b32_e32 v19, 7, v17
	s_delay_alu instid0(VALU_DEP_3)
	v_fmac_f16_e32 v12, v40, v2
	s_wait_alu 0xfffd
	v_cndmask_b32_e32 v13, 0x7c00, v13, vcc_lo
	v_cmp_ne_u32_e32 vcc_lo, 0, v6
	v_lshrrev_b32_e32 v17, 2, v17
	v_cmp_eq_u32_e64 s0, 3, v19
	v_cvt_f32_f16_e32 v12, v12
	v_mul_f16_e32 v2, v46, v2
	s_wait_alu 0xfffd
	v_cndmask_b32_e64 v6, 0, 1, vcc_lo
	v_cmp_eq_u32_e32 vcc_lo, 0x40f, v22
	v_and_or_b32 v0, 0x1ff, v1, v0
	v_fma_f16 v2, v40, v18, -v2
	s_delay_alu instid0(VALU_DEP_4)
	v_and_or_b32 v6, 0xffe, v20, v6
	s_wait_alu 0xfffd
	v_cndmask_b32_e32 v8, v13, v8, vcc_lo
	v_cvt_f64_f32_e32 v[12:13], v12
	v_cmp_lt_i32_e32 vcc_lo, 5, v19
	v_sub_nc_u32_e32 v20, 0x3f1, v21
	v_or_b32_e32 v19, 0x1000, v6
	v_and_or_b32 v23, 0x8000, v9, v8
	v_lshrrev_b32_e32 v9, 8, v1
	s_or_b32 vcc_lo, s0, vcc_lo
	v_med3_i32 v20, v20, 0, 13
	s_wait_alu 0xfffe
	v_add_co_ci_u32_e32 v17, vcc_lo, 0, v17, vcc_lo
	v_cmp_gt_i32_e32 vcc_lo, 31, v16
	v_cvt_f32_f16_e32 v2, v2
	v_lshrrev_b32_e32 v22, v20, v19
	v_add_nc_u32_e32 v18, 0xfffffc10, v21
	s_wait_alu 0xfffd
	v_cndmask_b32_e32 v17, 0x7c00, v17, vcc_lo
	v_cmp_ne_u32_e32 vcc_lo, 0, v0
	v_lshlrev_b32_e32 v8, v20, v22
	v_bfe_u32 v20, v1, 20, 11
	s_wait_alu 0xfffd
	v_cndmask_b32_e64 v0, 0, 1, vcc_lo
	v_cmp_ne_u32_e32 vcc_lo, 0, v10
	s_delay_alu instid0(VALU_DEP_2)
	v_and_or_b32 v0, 0xffe, v9, v0
	s_wait_alu 0xfffd
	v_cndmask_b32_e64 v10, 0, 1, vcc_lo
	v_cmp_ne_u32_e32 vcc_lo, v8, v19
	v_sub_nc_u32_e32 v9, 0x3f1, v20
	v_or_b32_e32 v19, 0x1000, v0
	s_delay_alu instid0(VALU_DEP_4)
	v_lshl_or_b32 v10, v10, 9, 0x7c00
	s_wait_alu 0xfffd
	v_cndmask_b32_e64 v8, 0, 1, vcc_lo
	v_med3_i32 v21, v9, 0, 13
	v_cmp_eq_u32_e32 vcc_lo, 0x40f, v16
	v_mul_f64_e32 v[12:13], s[6:7], v[12:13]
	s_delay_alu instid0(VALU_DEP_4)
	v_or_b32_e32 v22, v22, v8
	v_cvt_f64_f32_e32 v[8:9], v2
	v_lshrrev_b32_e32 v24, v21, v19
	v_lshl_or_b32 v2, v18, 12, v6
	s_wait_alu 0xfffd
	v_dual_cndmask_b32 v10, v17, v10 :: v_dual_add_nc_u32 v17, 0xfffffc10, v20
	v_cmp_gt_i32_e32 vcc_lo, 1, v18
	v_lshlrev_b32_e32 v16, v21, v24
	s_delay_alu instid0(VALU_DEP_3) | instskip(SKIP_2) | instid1(VALU_DEP_3)
	v_and_or_b32 v10, 0x8000, v11, v10
	s_wait_alu 0xfffd
	v_dual_cndmask_b32 v2, v2, v22 :: v_dual_and_b32 v11, 0xffff, v23
	v_cmp_ne_u32_e32 vcc_lo, v16, v19
	v_cmp_gt_i32_e64 s1, 1, v17
	s_delay_alu instid0(VALU_DEP_3) | instskip(NEXT) | instid1(VALU_DEP_4)
	v_lshl_or_b32 v19, v10, 16, v11
	v_and_b32_e32 v15, 7, v2
	s_wait_alu 0xfffd
	v_cndmask_b32_e64 v16, 0, 1, vcc_lo
	v_add_co_u32 v4, vcc_lo, v4, s2
	s_wait_alu 0xfffd
	v_add_co_ci_u32_e32 v5, vcc_lo, s3, v5, vcc_lo
	s_delay_alu instid0(VALU_DEP_3)
	v_or_b32_e32 v10, v24, v16
	v_lshl_or_b32 v11, v17, 12, v0
	v_lshrrev_b32_e32 v16, 16, v3
	v_cmp_lt_i32_e32 vcc_lo, 5, v15
	v_cmp_eq_u32_e64 s0, 3, v15
	v_lshrrev_b32_e32 v2, 2, v2
	s_wait_alu 0xf1ff
	v_cndmask_b32_e64 v15, v11, v10, s1
	v_mul_f16_e32 v10, v44, v16
	s_or_b32 vcc_lo, s0, vcc_lo
	s_wait_alu 0xfffe
	v_add_co_ci_u32_e32 v2, vcc_lo, 0, v2, vcc_lo
	v_cmp_ne_u32_e32 vcc_lo, 0, v6
	v_fmac_f16_e32 v10, v38, v3
	v_and_or_b32 v12, 0x1ff, v13, v12
	v_and_b32_e32 v11, 7, v15
	v_mul_f64_e32 v[8:9], s[6:7], v[8:9]
	s_wait_alu 0xfffd
	v_cndmask_b32_e64 v6, 0, 1, vcc_lo
	v_cmp_gt_i32_e32 vcc_lo, 31, v18
	v_cmp_ne_u32_e64 s1, 0, v12
	v_cvt_f32_f16_e32 v10, v10
	v_cmp_eq_u32_e64 s0, 3, v11
	v_lshl_or_b32 v6, v6, 9, 0x7c00
	s_wait_alu 0xfffd
	v_cndmask_b32_e32 v2, 0x7c00, v2, vcc_lo
	s_wait_alu 0xf1ff
	v_cndmask_b32_e64 v12, 0, 1, s1
	v_cmp_eq_u32_e64 s1, 0x40f, v18
	v_cmp_lt_i32_e32 vcc_lo, 5, v11
	v_cvt_f64_f32_e32 v[10:11], v10
	v_lshrrev_b32_e32 v20, 8, v13
	v_bfe_u32 v21, v13, 20, 11
	s_wait_alu 0xf1ff
	v_cndmask_b32_e64 v2, v2, v6, s1
	v_lshrrev_b32_e32 v6, 2, v15
	s_or_b32 vcc_lo, s0, vcc_lo
	v_and_or_b32 v12, 0xffe, v20, v12
	v_sub_nc_u32_e32 v15, 0x3f1, v21
	v_lshrrev_b32_e32 v20, 16, v7
	s_wait_alu 0xfffe
	v_add_co_ci_u32_e32 v6, vcc_lo, 0, v6, vcc_lo
	v_cmp_ne_u32_e32 vcc_lo, 0, v0
	v_or_b32_e32 v18, 0x1000, v12
	v_med3_i32 v15, v15, 0, 13
	v_and_or_b32 v20, 0x8000, v20, v2
	v_lshrrev_b32_e32 v13, 16, v13
	s_wait_alu 0xfffd
	v_cndmask_b32_e64 v0, 0, 1, vcc_lo
	v_cmp_gt_i32_e32 vcc_lo, 31, v17
	v_lshrrev_b32_e32 v23, v15, v18
	s_delay_alu instid0(VALU_DEP_3)
	v_lshl_or_b32 v0, v0, 9, 0x7c00
	s_wait_alu 0xfffd
	v_cndmask_b32_e32 v22, 0x7c00, v6, vcc_lo
	v_add_co_u32 v6, vcc_lo, v4, s2
	s_wait_alu 0xfffd
	v_add_co_ci_u32_e32 v7, vcc_lo, s3, v5, vcc_lo
	v_lshlrev_b32_e32 v2, v15, v23
	v_cmp_eq_u32_e32 vcc_lo, 0x40f, v17
	s_wait_alu 0xfffd
	v_cndmask_b32_e32 v15, v22, v0, vcc_lo
	v_and_or_b32 v0, 0x1ff, v9, v8
	v_cmp_ne_u32_e32 vcc_lo, v2, v18
	v_mul_f16_e32 v2, v44, v3
	v_lshrrev_b32_e32 v8, 16, v1
	v_lshrrev_b32_e32 v18, 8, v9
	v_bfe_u32 v22, v9, 20, 11
	s_wait_alu 0xfffd
	v_cndmask_b32_e64 v17, 0, 1, vcc_lo
	v_cmp_ne_u32_e32 vcc_lo, 0, v0
	v_mul_f64_e32 v[0:1], s[6:7], v[10:11]
	v_fma_f16 v2, v38, v16, -v2
	v_add_nc_u32_e32 v10, 0xa00, v42
	v_add_nc_u32_e32 v16, 0xfffffc10, v21
	s_wait_alu 0xfffd
	v_cndmask_b32_e64 v3, 0, 1, vcc_lo
	v_sub_nc_u32_e32 v21, 0x3f1, v22
	v_cvt_f32_f16_e32 v11, v2
	v_or_b32_e32 v17, v23, v17
	v_lshl_or_b32 v23, v16, 12, v12
	v_and_or_b32 v18, 0xffe, v18, v3
	ds_load_2addr_b32 v[2:3], v10 offset0:80 offset1:170
	v_cvt_f64_f32_e32 v[10:11], v11
	v_med3_i32 v21, v21, 0, 13
	v_and_or_b32 v8, 0x8000, v8, v15
	v_or_b32_e32 v24, 0x1000, v18
	v_and_b32_e32 v15, 0xffff, v20
	v_cmp_gt_i32_e32 vcc_lo, 1, v16
	s_clause 0x1
	global_store_b32 v[4:5], v14, off
	global_store_b32 v[6:7], v19, off
	v_cmp_eq_u32_e64 s1, 0x40f, v16
	v_lshrrev_b32_e32 v20, v21, v24
	v_lshl_or_b32 v14, v8, 16, v15
	s_wait_alu 0xfffd
	v_cndmask_b32_e32 v17, v23, v17, vcc_lo
	v_add_co_u32 v4, vcc_lo, v6, s2
	v_lshlrev_b32_e32 v15, v21, v20
	s_wait_alu 0xfffd
	v_add_co_ci_u32_e32 v5, vcc_lo, s3, v7, vcc_lo
	v_and_b32_e32 v8, 7, v17
	v_lshrrev_b32_e32 v9, 16, v9
	v_cmp_ne_u32_e64 s0, v15, v24
	s_wait_dscnt 0x0
	v_lshrrev_b32_e32 v19, 16, v2
	v_add_nc_u32_e32 v15, 0xfffffc10, v22
	v_cmp_lt_i32_e32 vcc_lo, 5, v8
	s_wait_alu 0xf1ff
	v_cndmask_b32_e64 v6, 0, 1, s0
	v_mul_f16_e32 v7, v41, v19
	v_cmp_eq_u32_e64 s0, 3, v8
	v_lshrrev_b32_e32 v8, 2, v17
	v_lshl_or_b32 v17, v15, 12, v18
	v_or_b32_e32 v6, v20, v6
	v_fmac_f16_e32 v7, v37, v2
	s_or_b32 vcc_lo, s0, vcc_lo
	v_and_or_b32 v0, 0x1ff, v1, v0
	s_wait_alu 0xfffe
	v_add_co_ci_u32_e32 v8, vcc_lo, 0, v8, vcc_lo
	v_cmp_gt_i32_e32 vcc_lo, 1, v15
	v_cvt_f32_f16_e32 v7, v7
	v_lshrrev_b32_e32 v20, 8, v1
	v_bfe_u32 v21, v1, 20, 11
	v_mul_f64_e32 v[10:11], s[6:7], v[10:11]
	s_wait_alu 0xfffd
	v_cndmask_b32_e32 v17, v17, v6, vcc_lo
	v_cmp_ne_u32_e32 vcc_lo, 0, v0
	v_cvt_f64_f32_e32 v[6:7], v7
	v_mul_f16_e32 v2, v41, v2
	s_delay_alu instid0(VALU_DEP_4)
	v_and_b32_e32 v22, 7, v17
	s_wait_alu 0xfffd
	v_cndmask_b32_e64 v0, 0, 1, vcc_lo
	v_cmp_ne_u32_e32 vcc_lo, 0, v12
	v_lshrrev_b32_e32 v17, 2, v17
	v_fma_f16 v2, v37, v19, -v2
	v_cmp_eq_u32_e64 s0, 3, v22
	v_and_or_b32 v0, 0xffe, v20, v0
	s_wait_alu 0xfffd
	v_cndmask_b32_e64 v12, 0, 1, vcc_lo
	v_cmp_gt_i32_e32 vcc_lo, 31, v16
	v_sub_nc_u32_e32 v20, 0x3f1, v21
	v_cvt_f32_f16_e32 v2, v2
	v_or_b32_e32 v23, 0x1000, v0
	v_lshl_or_b32 v12, v12, 9, 0x7c00
	s_wait_alu 0xfffd
	v_cndmask_b32_e32 v8, 0x7c00, v8, vcc_lo
	v_cmp_lt_i32_e32 vcc_lo, 5, v22
	v_med3_i32 v20, v20, 0, 13
	s_delay_alu instid0(VALU_DEP_3) | instskip(SKIP_1) | instid1(VALU_DEP_2)
	v_cndmask_b32_e64 v8, v8, v12, s1
	s_or_b32 vcc_lo, s0, vcc_lo
	v_lshrrev_b32_e32 v12, v20, v23
	s_wait_alu 0xfffe
	v_add_co_ci_u32_e32 v16, vcc_lo, 0, v17, vcc_lo
	v_cmp_ne_u32_e32 vcc_lo, 0, v18
	v_and_or_b32 v13, 0x8000, v13, v8
	v_lshlrev_b32_e32 v18, v20, v12
	v_add_nc_u32_e32 v20, 0xfffffc10, v21
	s_wait_alu 0xfffd
	v_cndmask_b32_e64 v17, 0, 1, vcc_lo
	v_cmp_gt_i32_e32 vcc_lo, 31, v15
	v_and_b32_e32 v13, 0xffff, v13
	v_and_or_b32 v10, 0x1ff, v11, v10
	s_delay_alu instid0(VALU_DEP_4)
	v_lshl_or_b32 v17, v17, 9, 0x7c00
	s_wait_alu 0xfffd
	v_cndmask_b32_e32 v16, 0x7c00, v16, vcc_lo
	v_cmp_ne_u32_e32 vcc_lo, v18, v23
	v_mul_f64_e32 v[6:7], s[6:7], v[6:7]
	s_wait_alu 0xfffd
	v_cndmask_b32_e64 v18, 0, 1, vcc_lo
	v_cmp_eq_u32_e32 vcc_lo, 0x40f, v15
	v_lshl_or_b32 v15, v20, 12, v0
	s_delay_alu instid0(VALU_DEP_3) | instskip(SKIP_4) | instid1(VALU_DEP_3)
	v_or_b32_e32 v12, v12, v18
	s_wait_alu 0xfffd
	v_cndmask_b32_e32 v8, v16, v17, vcc_lo
	v_cmp_gt_i32_e32 vcc_lo, 1, v20
	v_bfe_u32 v16, v11, 20, 11
	v_and_or_b32 v17, 0x8000, v9, v8
	s_wait_alu 0xfffd
	v_cndmask_b32_e32 v12, v15, v12, vcc_lo
	v_cmp_ne_u32_e32 vcc_lo, 0, v10
	v_lshrrev_b32_e32 v15, 8, v11
	v_cvt_f64_f32_e32 v[8:9], v2
	v_sub_nc_u32_e32 v2, 0x3f1, v16
	v_and_b32_e32 v18, 7, v12
	s_wait_alu 0xfffd
	v_cndmask_b32_e64 v10, 0, 1, vcc_lo
	v_lshrrev_b32_e32 v12, 2, v12
	v_lshl_or_b32 v17, v17, 16, v13
	v_med3_i32 v2, v2, 0, 13
	v_cmp_lt_i32_e32 vcc_lo, 5, v18
	v_and_or_b32 v10, 0xffe, v15, v10
	v_lshrrev_b32_e32 v15, 16, v3
	v_cmp_eq_u32_e64 s0, 3, v18
	v_add_nc_u32_e32 v16, 0xfffffc10, v16
	v_lshrrev_b32_e32 v11, 16, v11
	v_or_b32_e32 v19, 0x1000, v10
	v_mul_f16_e32 v21, v39, v15
	s_or_b32 vcc_lo, s0, vcc_lo
	v_lshl_or_b32 v23, v16, 12, v10
	s_wait_alu 0xfffe
	v_add_co_ci_u32_e32 v12, vcc_lo, 0, v12, vcc_lo
	v_lshrrev_b32_e32 v18, v2, v19
	v_cmp_ne_u32_e32 vcc_lo, 0, v0
	v_fmac_f16_e32 v21, v36, v3
	v_and_or_b32 v6, 0x1ff, v7, v6
	v_mul_f16_e32 v3, v39, v3
	v_lshlrev_b32_e32 v2, v2, v18
	s_wait_alu 0xfffd
	v_cndmask_b32_e64 v0, 0, 1, vcc_lo
	v_cmp_gt_i32_e32 vcc_lo, 31, v20
	v_cvt_f32_f16_e32 v13, v21
	v_bfe_u32 v22, v7, 20, 11
	v_fma_f16 v15, v36, v15, -v3
	v_lshl_or_b32 v0, v0, 9, 0x7c00
	s_wait_alu 0xfffd
	v_cndmask_b32_e32 v21, 0x7c00, v12, vcc_lo
	v_cmp_ne_u32_e32 vcc_lo, v2, v19
	v_cvt_f64_f32_e32 v[12:13], v13
	v_lshrrev_b32_e32 v19, 8, v7
	v_lshrrev_b32_e32 v7, 16, v7
	s_wait_alu 0xfffd
	v_cndmask_b32_e64 v2, 0, 1, vcc_lo
	v_cmp_ne_u32_e32 vcc_lo, 0, v6
	s_delay_alu instid0(VALU_DEP_2)
	v_or_b32_e32 v18, v18, v2
	s_wait_alu 0xfffd
	v_cndmask_b32_e64 v6, 0, 1, vcc_lo
	v_cmp_gt_i32_e32 vcc_lo, 1, v16
	v_mul_f64_e32 v[2:3], s[6:7], v[8:9]
	v_sub_nc_u32_e32 v8, 0x3f1, v22
	v_cvt_f32_f16_e32 v9, v15
	v_and_or_b32 v6, 0xffe, v19, v6
	s_wait_alu 0xfffd
	v_cndmask_b32_e32 v15, v23, v18, vcc_lo
	v_cmp_eq_u32_e32 vcc_lo, 0x40f, v20
	v_med3_i32 v19, v8, 0, 13
	v_cvt_f64_f32_e32 v[8:9], v9
	v_or_b32_e32 v18, 0x1000, v6
	s_wait_alu 0xfffd
	v_dual_cndmask_b32 v20, v21, v0 :: v_dual_and_b32 v23, 7, v15
	v_add_co_u32 v0, vcc_lo, v4, s2
	s_delay_alu instid0(VALU_DEP_3)
	v_lshrrev_b32_e32 v24, v19, v18
	v_lshrrev_b32_e32 v21, 16, v1
	s_wait_alu 0xfffd
	v_add_co_ci_u32_e32 v1, vcc_lo, s3, v5, vcc_lo
	v_cmp_lt_i32_e32 vcc_lo, 5, v23
	v_cmp_eq_u32_e64 s0, 3, v23
	v_lshrrev_b32_e32 v15, 2, v15
	v_lshlrev_b32_e32 v19, v19, v24
	s_delay_alu instid0(VALU_DEP_3) | instskip(SKIP_1) | instid1(VALU_DEP_2)
	s_or_b32 vcc_lo, s0, vcc_lo
	s_wait_alu 0xfffe
	v_add_co_ci_u32_e32 v15, vcc_lo, 0, v15, vcc_lo
	s_delay_alu instid0(VALU_DEP_2)
	v_cmp_ne_u32_e64 s1, v19, v18
	v_add_nc_u32_e32 v19, 0xfffffc10, v22
	v_cmp_ne_u32_e32 vcc_lo, 0, v10
	v_mul_f64_e32 v[12:13], s[6:7], v[12:13]
	v_and_or_b32 v20, 0x8000, v21, v20
	s_wait_alu 0xf1ff
	v_cndmask_b32_e64 v18, 0, 1, s1
	v_lshl_or_b32 v21, v19, 12, v6
	s_wait_alu 0xfffd
	v_cndmask_b32_e64 v10, 0, 1, vcc_lo
	v_cmp_gt_i32_e32 vcc_lo, 31, v16
	v_or_b32_e32 v18, v24, v18
	v_and_or_b32 v2, 0x1ff, v3, v2
	s_delay_alu instid0(VALU_DEP_4)
	v_lshl_or_b32 v10, v10, 9, 0x7c00
	s_wait_alu 0xfffd
	v_cndmask_b32_e32 v15, 0x7c00, v15, vcc_lo
	v_cmp_gt_i32_e32 vcc_lo, 1, v19
	v_mul_f64_e32 v[8:9], s[6:7], v[8:9]
	s_wait_alu 0xfffd
	v_cndmask_b32_e32 v18, v21, v18, vcc_lo
	v_cmp_eq_u32_e32 vcc_lo, 0x40f, v16
	v_lshrrev_b32_e32 v16, 8, v3
	v_bfe_u32 v21, v3, 20, 11
	v_lshrrev_b32_e32 v3, 16, v3
	s_wait_alu 0xfffd
	v_cndmask_b32_e32 v10, v15, v10, vcc_lo
	v_cmp_ne_u32_e32 vcc_lo, 0, v2
	s_delay_alu instid0(VALU_DEP_2) | instskip(SKIP_4) | instid1(VALU_DEP_3)
	v_and_or_b32 v10, 0x8000, v11, v10
	v_and_b32_e32 v11, 0xffff, v20
	v_and_b32_e32 v15, 7, v18
	s_wait_alu 0xfffd
	v_cndmask_b32_e64 v2, 0, 1, vcc_lo
	v_lshl_or_b32 v10, v10, 16, v11
	s_delay_alu instid0(VALU_DEP_3)
	v_cmp_lt_i32_e32 vcc_lo, 5, v15
	v_cmp_eq_u32_e64 s0, 3, v15
	v_lshrrev_b32_e32 v11, 2, v18
	v_and_or_b32 v2, 0xffe, v16, v2
	v_sub_nc_u32_e32 v16, 0x3f1, v21
	v_and_or_b32 v12, 0x1ff, v13, v12
	s_or_b32 vcc_lo, s0, vcc_lo
	v_lshrrev_b32_e32 v20, 8, v13
	s_wait_alu 0xfffe
	v_add_co_ci_u32_e32 v11, vcc_lo, 0, v11, vcc_lo
	v_or_b32_e32 v15, 0x1000, v2
	v_med3_i32 v16, v16, 0, 13
	v_cmp_ne_u32_e32 vcc_lo, 0, v6
	v_bfe_u32 v22, v13, 20, 11
	s_delay_alu instid0(VALU_DEP_3)
	v_lshrrev_b32_e32 v18, v16, v15
	s_wait_alu 0xfffd
	v_cndmask_b32_e64 v6, 0, 1, vcc_lo
	v_cmp_gt_i32_e32 vcc_lo, 31, v19
	v_and_or_b32 v8, 0x1ff, v9, v8
	v_lshlrev_b32_e32 v16, v16, v18
	s_delay_alu instid0(VALU_DEP_4)
	v_lshl_or_b32 v6, v6, 9, 0x7c00
	s_wait_alu 0xfffd
	v_cndmask_b32_e32 v11, 0x7c00, v11, vcc_lo
	v_cmp_ne_u32_e32 vcc_lo, 0, v12
	s_wait_alu 0xfffd
	v_cndmask_b32_e64 v12, 0, 1, vcc_lo
	v_cmp_ne_u32_e32 vcc_lo, v16, v15
	v_add_nc_u32_e32 v16, 0xfffffc10, v21
	v_bfe_u32 v21, v9, 20, 11
	s_delay_alu instid0(VALU_DEP_4) | instskip(SKIP_4) | instid1(VALU_DEP_2)
	v_and_or_b32 v12, 0xffe, v20, v12
	s_wait_alu 0xfffd
	v_cndmask_b32_e64 v15, 0, 1, vcc_lo
	v_sub_nc_u32_e32 v20, 0x3f1, v22
	v_cmp_eq_u32_e32 vcc_lo, 0x40f, v19
	v_med3_i32 v19, v20, 0, 13
	s_wait_alu 0xfffd
	v_cndmask_b32_e32 v6, v11, v6, vcc_lo
	v_or_b32_e32 v11, v18, v15
	v_lshl_or_b32 v15, v16, 12, v2
	v_or_b32_e32 v18, 0x1000, v12
	v_cmp_gt_i32_e32 vcc_lo, 1, v16
	v_lshrrev_b32_e32 v20, 8, v9
	v_and_or_b32 v6, 0x8000, v7, v6
	s_wait_alu 0xfffd
	v_cndmask_b32_e32 v11, v15, v11, vcc_lo
	v_lshrrev_b32_e32 v15, v19, v18
	v_cmp_ne_u32_e32 vcc_lo, 0, v8
	v_and_b32_e32 v6, 0xffff, v6
	s_delay_alu instid0(VALU_DEP_4) | instskip(NEXT) | instid1(VALU_DEP_4)
	v_and_b32_e32 v23, 7, v11
	v_lshlrev_b32_e32 v19, v19, v15
	s_wait_alu 0xfffd
	v_cndmask_b32_e64 v8, 0, 1, vcc_lo
	v_lshrrev_b32_e32 v11, 2, v11
	v_cmp_lt_i32_e32 vcc_lo, 5, v23
	v_cmp_ne_u32_e64 s0, v19, v18
	s_delay_alu instid0(VALU_DEP_4)
	v_and_or_b32 v7, 0xffe, v20, v8
	v_sub_nc_u32_e32 v8, 0x3f1, v21
	v_add_nc_u32_e32 v20, 0xfffffc10, v22
	s_wait_alu 0xf1ff
	v_cndmask_b32_e64 v18, 0, 1, s0
	v_cmp_eq_u32_e64 s0, 3, v23
	v_or_b32_e32 v19, 0x1000, v7
	v_med3_i32 v8, v8, 0, 13
	v_lshl_or_b32 v22, v20, 12, v12
	v_or_b32_e32 v15, v15, v18
	s_or_b32 vcc_lo, s0, vcc_lo
	s_wait_alu 0xfffe
	v_add_co_ci_u32_e32 v11, vcc_lo, 0, v11, vcc_lo
	v_lshrrev_b32_e32 v18, v8, v19
	v_cmp_gt_i32_e32 vcc_lo, 1, v20
	s_wait_alu 0xfffd
	s_delay_alu instid0(VALU_DEP_2) | instskip(SKIP_3) | instid1(VALU_DEP_3)
	v_dual_cndmask_b32 v15, v22, v15 :: v_dual_lshlrev_b32 v8, v8, v18
	v_cmp_ne_u32_e32 vcc_lo, 0, v2
	s_wait_alu 0xfffd
	v_cndmask_b32_e64 v2, 0, 1, vcc_lo
	v_cmp_ne_u32_e32 vcc_lo, v8, v19
	v_add_nc_u32_e32 v19, 0xfffffc10, v21
	v_and_b32_e32 v21, 7, v15
	s_delay_alu instid0(VALU_DEP_4)
	v_lshl_or_b32 v2, v2, 9, 0x7c00
	s_wait_alu 0xfffd
	v_cndmask_b32_e64 v8, 0, 1, vcc_lo
	v_cmp_gt_i32_e32 vcc_lo, 31, v16
	v_cmp_gt_i32_e64 s1, 1, v19
	v_cmp_eq_u32_e64 s0, 3, v21
	s_delay_alu instid0(VALU_DEP_4)
	v_or_b32_e32 v8, v18, v8
	v_lshl_or_b32 v18, v19, 12, v7
	s_wait_alu 0xfffd
	v_cndmask_b32_e32 v11, 0x7c00, v11, vcc_lo
	v_cmp_lt_i32_e32 vcc_lo, 5, v21
	s_wait_alu 0xf1ff
	v_cndmask_b32_e64 v8, v18, v8, s1
	v_cmp_eq_u32_e64 s1, 0x40f, v16
	s_or_b32 vcc_lo, s0, vcc_lo
	s_delay_alu instid0(VALU_DEP_1)
	v_cndmask_b32_e64 v2, v11, v2, s1
	v_lshrrev_b32_e32 v11, 2, v15
	v_and_b32_e32 v15, 7, v8
	v_lshrrev_b32_e32 v8, 2, v8
	v_cmp_gt_i32_e64 s1, 31, v20
	s_wait_alu 0xfffe
	v_add_co_ci_u32_e32 v11, vcc_lo, 0, v11, vcc_lo
	v_cmp_ne_u32_e32 vcc_lo, 0, v12
	v_cmp_eq_u32_e64 s0, 3, v15
	s_wait_alu 0xf1ff
	s_delay_alu instid0(VALU_DEP_3) | instskip(SKIP_3) | instid1(VALU_DEP_2)
	v_cndmask_b32_e64 v11, 0x7c00, v11, s1
	s_wait_alu 0xfffd
	v_cndmask_b32_e64 v12, 0, 1, vcc_lo
	v_cmp_lt_i32_e32 vcc_lo, 5, v15
	v_lshl_or_b32 v12, v12, 9, 0x7c00
	s_or_b32 vcc_lo, s0, vcc_lo
	s_wait_alu 0xfffe
	v_add_co_ci_u32_e32 v8, vcc_lo, 0, v8, vcc_lo
	v_cmp_ne_u32_e32 vcc_lo, 0, v7
	s_wait_alu 0xfffd
	v_cndmask_b32_e64 v7, 0, 1, vcc_lo
	v_cmp_eq_u32_e32 vcc_lo, 0x40f, v20
	s_delay_alu instid0(VALU_DEP_2)
	v_lshl_or_b32 v7, v7, 9, 0x7c00
	s_wait_alu 0xfffd
	v_cndmask_b32_e32 v11, v11, v12, vcc_lo
	v_cmp_gt_i32_e32 vcc_lo, 31, v19
	v_lshrrev_b32_e32 v12, 16, v13
	v_and_or_b32 v13, 0x8000, v3, v2
	s_wait_alu 0xfffd
	v_cndmask_b32_e32 v8, 0x7c00, v8, vcc_lo
	v_cmp_eq_u32_e32 vcc_lo, 0x40f, v19
	v_and_or_b32 v11, 0x8000, v12, v11
	v_lshl_or_b32 v12, v13, 16, v6
	s_wait_alu 0xfffd
	v_cndmask_b32_e32 v7, v8, v7, vcc_lo
	v_lshrrev_b32_e32 v8, 16, v9
	v_add_co_u32 v2, vcc_lo, v0, s2
	s_wait_alu 0xfffd
	v_add_co_ci_u32_e32 v3, vcc_lo, s3, v1, vcc_lo
	s_delay_alu instid0(VALU_DEP_3) | instskip(SKIP_4) | instid1(VALU_DEP_3)
	v_and_or_b32 v8, 0x8000, v8, v7
	v_and_b32_e32 v9, 0xffff, v11
	v_add_co_u32 v6, vcc_lo, v2, s2
	s_wait_alu 0xfffd
	v_add_co_ci_u32_e32 v7, vcc_lo, s3, v3, vcc_lo
	v_lshl_or_b32 v11, v8, 16, v9
	s_delay_alu instid0(VALU_DEP_3) | instskip(SKIP_1) | instid1(VALU_DEP_3)
	v_add_co_u32 v8, vcc_lo, v6, s2
	s_wait_alu 0xfffd
	v_add_co_ci_u32_e32 v9, vcc_lo, s3, v7, vcc_lo
	global_store_b32 v[4:5], v14, off
	global_store_b32 v[0:1], v17, off
	;; [unrolled: 1-line block ×5, first 2 shown]
.LBB0_18:
	s_nop 0
	s_sendmsg sendmsg(MSG_DEALLOC_VGPRS)
	s_endpgm
	.section	.rodata,"a",@progbits
	.p2align	6, 0x0
	.amdhsa_kernel bluestein_single_back_len900_dim1_half_op_CI_CI
		.amdhsa_group_segment_fixed_size 7200
		.amdhsa_private_segment_fixed_size 0
		.amdhsa_kernarg_size 104
		.amdhsa_user_sgpr_count 2
		.amdhsa_user_sgpr_dispatch_ptr 0
		.amdhsa_user_sgpr_queue_ptr 0
		.amdhsa_user_sgpr_kernarg_segment_ptr 1
		.amdhsa_user_sgpr_dispatch_id 0
		.amdhsa_user_sgpr_private_segment_size 0
		.amdhsa_wavefront_size32 1
		.amdhsa_uses_dynamic_stack 0
		.amdhsa_enable_private_segment 0
		.amdhsa_system_sgpr_workgroup_id_x 1
		.amdhsa_system_sgpr_workgroup_id_y 0
		.amdhsa_system_sgpr_workgroup_id_z 0
		.amdhsa_system_sgpr_workgroup_info 0
		.amdhsa_system_vgpr_workitem_id 0
		.amdhsa_next_free_vgpr 138
		.amdhsa_next_free_sgpr 20
		.amdhsa_reserve_vcc 1
		.amdhsa_float_round_mode_32 0
		.amdhsa_float_round_mode_16_64 0
		.amdhsa_float_denorm_mode_32 3
		.amdhsa_float_denorm_mode_16_64 3
		.amdhsa_fp16_overflow 0
		.amdhsa_workgroup_processor_mode 1
		.amdhsa_memory_ordered 1
		.amdhsa_forward_progress 0
		.amdhsa_round_robin_scheduling 0
		.amdhsa_exception_fp_ieee_invalid_op 0
		.amdhsa_exception_fp_denorm_src 0
		.amdhsa_exception_fp_ieee_div_zero 0
		.amdhsa_exception_fp_ieee_overflow 0
		.amdhsa_exception_fp_ieee_underflow 0
		.amdhsa_exception_fp_ieee_inexact 0
		.amdhsa_exception_int_div_zero 0
	.end_amdhsa_kernel
	.text
.Lfunc_end0:
	.size	bluestein_single_back_len900_dim1_half_op_CI_CI, .Lfunc_end0-bluestein_single_back_len900_dim1_half_op_CI_CI
                                        ; -- End function
	.section	.AMDGPU.csdata,"",@progbits
; Kernel info:
; codeLenInByte = 17760
; NumSgprs: 22
; NumVgprs: 138
; ScratchSize: 0
; MemoryBound: 0
; FloatMode: 240
; IeeeMode: 1
; LDSByteSize: 7200 bytes/workgroup (compile time only)
; SGPRBlocks: 2
; VGPRBlocks: 17
; NumSGPRsForWavesPerEU: 22
; NumVGPRsForWavesPerEU: 138
; Occupancy: 10
; WaveLimiterHint : 1
; COMPUTE_PGM_RSRC2:SCRATCH_EN: 0
; COMPUTE_PGM_RSRC2:USER_SGPR: 2
; COMPUTE_PGM_RSRC2:TRAP_HANDLER: 0
; COMPUTE_PGM_RSRC2:TGID_X_EN: 1
; COMPUTE_PGM_RSRC2:TGID_Y_EN: 0
; COMPUTE_PGM_RSRC2:TGID_Z_EN: 0
; COMPUTE_PGM_RSRC2:TIDIG_COMP_CNT: 0
	.text
	.p2alignl 7, 3214868480
	.fill 96, 4, 3214868480
	.type	__hip_cuid_8c5145b7f9e5e3b4,@object ; @__hip_cuid_8c5145b7f9e5e3b4
	.section	.bss,"aw",@nobits
	.globl	__hip_cuid_8c5145b7f9e5e3b4
__hip_cuid_8c5145b7f9e5e3b4:
	.byte	0                               ; 0x0
	.size	__hip_cuid_8c5145b7f9e5e3b4, 1

	.ident	"AMD clang version 19.0.0git (https://github.com/RadeonOpenCompute/llvm-project roc-6.4.0 25133 c7fe45cf4b819c5991fe208aaa96edf142730f1d)"
	.section	".note.GNU-stack","",@progbits
	.addrsig
	.addrsig_sym __hip_cuid_8c5145b7f9e5e3b4
	.amdgpu_metadata
---
amdhsa.kernels:
  - .args:
      - .actual_access:  read_only
        .address_space:  global
        .offset:         0
        .size:           8
        .value_kind:     global_buffer
      - .actual_access:  read_only
        .address_space:  global
        .offset:         8
        .size:           8
        .value_kind:     global_buffer
      - .actual_access:  read_only
        .address_space:  global
        .offset:         16
        .size:           8
        .value_kind:     global_buffer
      - .actual_access:  read_only
        .address_space:  global
        .offset:         24
        .size:           8
        .value_kind:     global_buffer
      - .actual_access:  read_only
        .address_space:  global
        .offset:         32
        .size:           8
        .value_kind:     global_buffer
      - .offset:         40
        .size:           8
        .value_kind:     by_value
      - .address_space:  global
        .offset:         48
        .size:           8
        .value_kind:     global_buffer
      - .address_space:  global
        .offset:         56
        .size:           8
        .value_kind:     global_buffer
      - .address_space:  global
        .offset:         64
        .size:           8
        .value_kind:     global_buffer
      - .address_space:  global
        .offset:         72
        .size:           8
        .value_kind:     global_buffer
      - .offset:         80
        .size:           4
        .value_kind:     by_value
      - .address_space:  global
        .offset:         88
        .size:           8
        .value_kind:     global_buffer
      - .address_space:  global
        .offset:         96
        .size:           8
        .value_kind:     global_buffer
    .group_segment_fixed_size: 7200
    .kernarg_segment_align: 8
    .kernarg_segment_size: 104
    .language:       OpenCL C
    .language_version:
      - 2
      - 0
    .max_flat_workgroup_size: 180
    .name:           bluestein_single_back_len900_dim1_half_op_CI_CI
    .private_segment_fixed_size: 0
    .sgpr_count:     22
    .sgpr_spill_count: 0
    .symbol:         bluestein_single_back_len900_dim1_half_op_CI_CI.kd
    .uniform_work_group_size: 1
    .uses_dynamic_stack: false
    .vgpr_count:     138
    .vgpr_spill_count: 0
    .wavefront_size: 32
    .workgroup_processor_mode: 1
amdhsa.target:   amdgcn-amd-amdhsa--gfx1201
amdhsa.version:
  - 1
  - 2
...

	.end_amdgpu_metadata
